;; amdgpu-corpus repo=ROCm/Tensile kind=harvested arch=n/a opt=n/a

/******************************************/
/* Function Prefix                        */
/******************************************/



/******************************************/
/* Begin Kernel                           */
/******************************************/

// Component.Signature.SignatureDefault
.amdgcn_target "amdgcn-amd-amdhsa--gfx90a"
.text
.protected Cijk_Ailk_Bljk_HHS_BHR_MT256x64x32_MI32x32x8x1_SN_1LDSB1_AF0EM1_AF1EM1_AMAS3_ASE_ASLT_ASEM1_BL1_EPS0_GLVWA8_GLVWB8_GRVW8_GSU1_GSUASB_ISA90a_IU1_K1_KLA_LBSPPB128_LPA0_LPB8_LDL1_LRVW4_LDW0_FMA_MIAV1_MMFGLC_NTC0_NTD0_NEPBS0_NLCA1_NLCB1_PGR2_PLR5_SIA3_SS1_SU0_SUM0_SUS0_SPO0_SRVW0_SSO0_SVW2_TT2_64_TLDS1_UMLDSB1_USFGROn1_VAW2_VSn1_VW2_VWB2_WSGRA0_WSGRB0_WG128_2_1_WGM8
.globl Cijk_Ailk_Bljk_HHS_BHR_MT256x64x32_MI32x32x8x1_SN_1LDSB1_AF0EM1_AF1EM1_AMAS3_ASE_ASLT_ASEM1_BL1_EPS0_GLVWA8_GLVWB8_GRVW8_GSU1_GSUASB_ISA90a_IU1_K1_KLA_LBSPPB128_LPA0_LPB8_LDL1_LRVW4_LDW0_FMA_MIAV1_MMFGLC_NTC0_NTD0_NEPBS0_NLCA1_NLCB1_PGR2_PLR5_SIA3_SS1_SU0_SUM0_SUS0_SPO0_SRVW0_SSO0_SVW2_TT2_64_TLDS1_UMLDSB1_USFGROn1_VAW2_VSn1_VW2_VWB2_WSGRA0_WSGRB0_WG128_2_1_WGM8
.p2align 8
.type Cijk_Ailk_Bljk_HHS_BHR_MT256x64x32_MI32x32x8x1_SN_1LDSB1_AF0EM1_AF1EM1_AMAS3_ASE_ASLT_ASEM1_BL1_EPS0_GLVWA8_GLVWB8_GRVW8_GSU1_GSUASB_ISA90a_IU1_K1_KLA_LBSPPB128_LPA0_LPB8_LDL1_LRVW4_LDW0_FMA_MIAV1_MMFGLC_NTC0_NTD0_NEPBS0_NLCA1_NLCB1_PGR2_PLR5_SIA3_SS1_SU0_SUM0_SUS0_SPO0_SRVW0_SSO0_SVW2_TT2_64_TLDS1_UMLDSB1_USFGROn1_VAW2_VSn1_VW2_VWB2_WSGRA0_WSGRB0_WG128_2_1_WGM8,@function
.section .rodata,#alloc
.p2align 6
.amdhsa_kernel Cijk_Ailk_Bljk_HHS_BHR_MT256x64x32_MI32x32x8x1_SN_1LDSB1_AF0EM1_AF1EM1_AMAS3_ASE_ASLT_ASEM1_BL1_EPS0_GLVWA8_GLVWB8_GRVW8_GSU1_GSUASB_ISA90a_IU1_K1_KLA_LBSPPB128_LPA0_LPB8_LDL1_LRVW4_LDW0_FMA_MIAV1_MMFGLC_NTC0_NTD0_NEPBS0_NLCA1_NLCB1_PGR2_PLR5_SIA3_SS1_SU0_SUM0_SUS0_SPO0_SRVW0_SSO0_SVW2_TT2_64_TLDS1_UMLDSB1_USFGROn1_VAW2_VSn1_VW2_VWB2_WSGRA0_WSGRB0_WG128_2_1_WGM8
  .amdhsa_user_sgpr_kernarg_segment_ptr 1
  .amdhsa_user_sgpr_kernarg_preload_offset 0
  .amdhsa_user_sgpr_kernarg_preload_length 0
  .amdhsa_user_sgpr_count 2
  .amdhsa_accum_offset 168 // accvgpr offset
  .amdhsa_next_free_vgpr 168 // vgprs
  .amdhsa_next_free_sgpr 58 // sgprs
  .amdhsa_group_segment_fixed_size 20992 // lds bytes
  .amdhsa_private_segment_fixed_size 0
  .amdhsa_system_sgpr_workgroup_id_x 1
  .amdhsa_system_sgpr_workgroup_id_y 1
  .amdhsa_system_sgpr_workgroup_id_z 1
  .amdhsa_system_vgpr_workitem_id 0
  .amdhsa_float_denorm_mode_32 3
  .amdhsa_float_denorm_mode_16_64 3
.end_amdhsa_kernel
.text

/******************************************/
/* Optimizations and Config:              */
/******************************************/
/* ThreadTile= 32 x 2 */
/* SubGroup= 8 x 32 */
/* VectorWidthA=2 */
/* VectorWidthB=2 */
/* GlobalLoadVectorWidthA=8, GlobalLoadVectorWidthB=8 */
/* DirectToLdsA=False */
/* DirectToLdsB=False */
/* UseSgprForGRO=False */
.amdgpu_metadata
---
amdhsa.version:
  - 1
  - 1
amdhsa.target: amdgcn-amd-amdhsa--gfx90a
amdhsa.kernels:
  - .name: Cijk_Ailk_Bljk_HHS_BHR_MT256x64x32_MI32x32x8x1_SN_1LDSB1_AF0EM1_AF1EM1_AMAS3_ASE_ASLT_ASEM1_BL1_EPS0_GLVWA8_GLVWB8_GRVW8_GSU1_GSUASB_ISA90a_IU1_K1_KLA_LBSPPB128_LPA0_LPB8_LDL1_LRVW4_LDW0_FMA_MIAV1_MMFGLC_NTC0_NTD0_NEPBS0_NLCA1_NLCB1_PGR2_PLR5_SIA3_SS1_SU0_SUM0_SUS0_SPO0_SRVW0_SSO0_SVW2_TT2_64_TLDS1_UMLDSB1_USFGROn1_VAW2_VSn1_VW2_VWB2_WSGRA0_WSGRB0_WG128_2_1_WGM8
    .symbol: 'Cijk_Ailk_Bljk_HHS_BHR_MT256x64x32_MI32x32x8x1_SN_1LDSB1_AF0EM1_AF1EM1_AMAS3_ASE_ASLT_ASEM1_BL1_EPS0_GLVWA8_GLVWB8_GRVW8_GSU1_GSUASB_ISA90a_IU1_K1_KLA_LBSPPB128_LPA0_LPB8_LDL1_LRVW4_LDW0_FMA_MIAV1_MMFGLC_NTC0_NTD0_NEPBS0_NLCA1_NLCB1_PGR2_PLR5_SIA3_SS1_SU0_SUM0_SUS0_SPO0_SRVW0_SSO0_SVW2_TT2_64_TLDS1_UMLDSB1_USFGROn1_VAW2_VSn1_VW2_VWB2_WSGRA0_WSGRB0_WG128_2_1_WGM8.kd'
    .language:                   OpenCL C
    .language_version:
      - 2
      - 0
    .args:
      - .name:            Tensor2dSizeA
        .size:            8
        .offset:          0
        .value_kind:      by_value
        .value_type:      u64
      - .name:            Tensor2dSizeB
        .size:            8
        .offset:          8
        .value_kind:      by_value
        .value_type:      u64
      - .name:            AddressD
        .size:            8
        .offset:          16
        .value_kind:      by_value
        .value_type:      u64
      - .name:            AddressC
        .size:            8
        .offset:          24
        .value_kind:      by_value
        .value_type:      u64
      - .name:            AddressA
        .size:            8
        .offset:          32
        .value_kind:      by_value
        .value_type:      u64
      - .name:            AddressB
        .size:            8
        .offset:          40
        .value_kind:      by_value
        .value_type:      u64
      - .name:            Alpha
        .size:            4
        .offset:          48
        .value_kind:      by_value
        .value_type:      u32
      - .name:            Beta
        .size:            4
        .offset:          52
        .value_kind:      by_value
        .value_type:      u32
      - .name:            StridesD
        .size:            8
        .offset:          56
        .value_kind:      by_value
        .value_type:      u64
      - .name:            StridesC
        .size:            8
        .offset:          64
        .value_kind:      by_value
        .value_type:      u64
      - .name:            StridesA
        .size:            8
        .offset:          72
        .value_kind:      by_value
        .value_type:      u64
      - .name:            StridesB
        .size:            8
        .offset:          80
        .value_kind:      by_value
        .value_type:      u64
      - .name:            SizesFree
        .size:            12
        .offset:          88
        .value_kind:      by_value
        .value_type:      u96
      - .name:            SizesSum
        .size:            4
        .offset:          100
        .value_kind:      by_value
        .value_type:      u32
      - .name:            NumWorkGroups0
        .size:            4
        .offset:          104
        .value_kind:      by_value
        .value_type:      u32
      - .name:            NumWorkGroups1
        .size:            4
        .offset:          108
        .value_kind:      by_value
        .value_type:      u32
      - .name:            NumFullBlocks
        .size:            4
        .offset:          112
        .value_kind:      by_value
        .value_type:      u32
      - .name:            WgmRemainder1
        .size:            4
        .offset:          116
        .value_kind:      by_value
        .value_type:      u32
      - .name:            MagicNumberWgmRemainder1
        .size:            4
        .offset:          120
        .value_kind:      by_value
        .value_type:      u32
    .group_segment_fixed_size:   20992
    .kernarg_segment_align:      8
    .kernarg_segment_size:       128
    .max_flat_workgroup_size:    256
    .private_segment_fixed_size: 0
    .sgpr_count:                 58
    .sgpr_spill_count:           0
    .vgpr_count:                 168
    .vgpr_spill_count:           0
    .wavefront_size:             64
...
.end_amdgpu_metadata
Cijk_Ailk_Bljk_HHS_BHR_MT256x64x32_MI32x32x8x1_SN_1LDSB1_AF0EM1_AF1EM1_AMAS3_ASE_ASLT_ASEM1_BL1_EPS0_GLVWA8_GLVWB8_GRVW8_GSU1_GSUASB_ISA90a_IU1_K1_KLA_LBSPPB128_LPA0_LPB8_LDL1_LRVW4_LDW0_FMA_MIAV1_MMFGLC_NTC0_NTD0_NEPBS0_NLCA1_NLCB1_PGR2_PLR5_SIA3_SS1_SU0_SUM0_SUS0_SPO0_SRVW0_SSO0_SVW2_TT2_64_TLDS1_UMLDSB1_USFGROn1_VAW2_VSn1_VW2_VWB2_WSGRA0_WSGRB0_WG128_2_1_WGM8:

/******************************************/
/* Asm syntax workarounds                 */
/******************************************/
.macro _v_add_co_u32 dst:req, cc:req, src0:req, src1:req, dpp=
   v_add_co_u32 \dst, \cc, \src0, \src1 \dpp
.endm

.macro _v_add_u32 dst:req, src0:req, src1:req, dpp=
   v_add_u32 \dst, \src0, \src1 \dpp
.endm

.macro _v_add_i32 dst:req, src0:req, src1:req, dpp=
   v_add_i32 \dst, \src0, \src1 \dpp
.endm

.macro _v_addc_co_u32 dst:req, ccOut:req, src0:req, ccIn:req, src1:req, dpp=
   v_addc_co_u32 \dst, \ccOut, \src0, \ccIn, \src1 \dpp
.endm

.macro _v_sub_co_u32 dst:req, cc:req, src0:req, src1:req, dpp=
   v_sub_co_u32 \dst, \cc, \src0, \src1 \dpp
.endm

.macro _v_sub_u32 dst:req, src0:req, src1:req, dpp=
   v_sub_u32 \dst, \src0, \src1 \dpp
.endm

.macro _v_sub_i32 dst:req, src0:req, src1:req, dpp=
   v_sub_i32 \dst, \src0, \src1 \dpp
.endm

.macro _v_add_lshl_u32 dst:req, src0:req, src1:req, shiftCnt:req
    v_add_lshl_u32 \dst, \src0, \src1, \shiftCnt
.endm

.macro _v_lshl_add_u32 dst:req, src0:req, src1:req, shiftCnt:req
    v_lshl_add_u32 \dst, \src0, \src1, \shiftCnt
.endm

.macro _v_lshl_or_b32 dst:req, src0:req, shiftCnt:req, src1:req
    v_lshl_or_b32 \dst, \src0, \shiftCnt, \src1
.endm

.macro _v_dot2acc_f32_f16 dst, src0, src1
v_dot2c_f32_f16 \dst, \src0, \src1
.endm

.macro _v_cmpx_lt_i16 dst, src0, src1=
   v_cmpx_lt_i16 \dst, \src0, \src1 
.endm

.macro _v_cmpx_lt_i32 dst, src0, src1=
   v_cmpx_lt_i32 \dst, \src0, \src1 
.endm

.macro _v_cmpx_lt_i64 dst, src0, src1=
   v_cmpx_lt_i64 \dst, \src0, \src1 
.endm

.macro _v_cmpx_lt_u16 dst, src0, src1=
   v_cmpx_lt_u16 \dst, \src0, \src1 
.endm

.macro _v_cmpx_lt_u32 dst, src0, src1=
   v_cmpx_lt_u32 \dst, \src0, \src1 
.endm

.macro _v_cmpx_lt_u64 dst, src0, src1=
   v_cmpx_lt_u64 \dst, \src0, \src1 
.endm

.macro _v_cmpx_eq_i16 dst, src0, src1=
   v_cmpx_eq_i16 \dst, \src0, \src1 
.endm

.macro _v_cmpx_eq_i32 dst, src0, src1=
   v_cmpx_eq_i32 \dst, \src0, \src1 
.endm

.macro _v_cmpx_eq_i64 dst, src0, src1=
   v_cmpx_eq_i64 \dst, \src0, \src1 
.endm

.macro _v_cmpx_eq_u16 dst, src0, src1=
   v_cmpx_eq_u16 \dst, \src0, \src1 
.endm

.macro _v_cmpx_eq_u32 dst, src0, src1=
   v_cmpx_eq_u32 \dst, \src0, \src1 
.endm

.macro _v_cmpx_eq_u64 dst, src0, src1=
   v_cmpx_eq_u64 \dst, \src0, \src1 
.endm

.macro _v_cmpx_le_i16 dst, src0, src1=
   v_cmpx_le_i16 \dst, \src0, \src1 
.endm

.macro _v_cmpx_le_i32 dst, src0, src1=
   v_cmpx_le_i32 \dst, \src0, \src1 
.endm

.macro _v_cmpx_le_i64 dst, src0, src1=
   v_cmpx_le_i64 \dst, \src0, \src1 
.endm

.macro _v_cmpx_le_u16 dst, src0, src1=
   v_cmpx_le_u16 \dst, \src0, \src1 
.endm

.macro _v_cmpx_le_u32 dst, src0, src1=
   v_cmpx_le_u32 \dst, \src0, \src1 
.endm

.macro _v_cmpx_le_u64 dst, src0, src1=
   v_cmpx_le_u64 \dst, \src0, \src1 
.endm

.macro _v_cmpx_gt_i16 dst, src0, src1=
   v_cmpx_gt_i16 \dst, \src0, \src1 
.endm

.macro _v_cmpx_gt_i32 dst, src0, src1=
   v_cmpx_gt_i32 \dst, \src0, \src1 
.endm

.macro _v_cmpx_gt_i64 dst, src0, src1=
   v_cmpx_gt_i64 \dst, \src0, \src1 
.endm

.macro _v_cmpx_gt_u16 dst, src0, src1=
   v_cmpx_gt_u16 \dst, \src0, \src1 
.endm

.macro _v_cmpx_gt_u32 dst, src0, src1=
   v_cmpx_gt_u32 \dst, \src0, \src1 
.endm

.macro _v_cmpx_gt_u64 dst, src0, src1=
   v_cmpx_gt_u64 \dst, \src0, \src1 
.endm

.macro _v_cmpx_ne_i16 dst, src0, src1=
   v_cmpx_ne_i16 \dst, \src0, \src1 
.endm

.macro _v_cmpx_ne_i32 dst, src0, src1=
   v_cmpx_ne_i32 \dst, \src0, \src1 
.endm

.macro _v_cmpx_ne_i64 dst, src0, src1=
   v_cmpx_ne_i64 \dst, \src0, \src1 
.endm

.macro _v_cmpx_ne_u16 dst, src0, src1=
   v_cmpx_ne_u16 \dst, \src0, \src1 
.endm

.macro _v_cmpx_ne_u32 dst, src0, src1=
   v_cmpx_ne_u32 \dst, \src0, \src1 
.endm

.macro _v_cmpx_ne_u64 dst, src0, src1=
   v_cmpx_ne_u64 \dst, \src0, \src1 
.endm

.macro _v_cmpx_lg_i16 dst, src0, src1=
   v_cmpx_lg_i16 \dst, \src0, \src1 
.endm

.macro _v_cmpx_lg_i32 dst, src0, src1=
   v_cmpx_lg_i32 \dst, \src0, \src1 
.endm

.macro _v_cmpx_lg_i64 dst, src0, src1=
   v_cmpx_lg_i64 \dst, \src0, \src1 
.endm

.macro _v_cmpx_lg_u16 dst, src0, src1=
   v_cmpx_lg_u16 \dst, \src0, \src1 
.endm

.macro _v_cmpx_lg_u32 dst, src0, src1=
   v_cmpx_lg_u32 \dst, \src0, \src1 
.endm

.macro _v_cmpx_lg_u64 dst, src0, src1=
   v_cmpx_lg_u64 \dst, \src0, \src1 
.endm

.macro _v_cmpx_ge_i16 dst, src0, src1=
   v_cmpx_ge_i16 \dst, \src0, \src1 
.endm

.macro _v_cmpx_ge_i32 dst, src0, src1=
   v_cmpx_ge_i32 \dst, \src0, \src1 
.endm

.macro _v_cmpx_ge_i64 dst, src0, src1=
   v_cmpx_ge_i64 \dst, \src0, \src1 
.endm

.macro _v_cmpx_ge_u16 dst, src0, src1=
   v_cmpx_ge_u16 \dst, \src0, \src1 
.endm

.macro _v_cmpx_ge_u32 dst, src0, src1=
   v_cmpx_ge_u32 \dst, \src0, \src1 
.endm

.macro _v_cmpx_ge_u64 dst, src0, src1=
   v_cmpx_ge_u64 \dst, \src0, \src1 
.endm

.macro _v_cmpx_o_i16 dst, src0, src1=
   v_cmpx_o_i16 \dst, \src0, \src1 
.endm

.macro _v_cmpx_o_i32 dst, src0, src1=
   v_cmpx_o_i32 \dst, \src0, \src1 
.endm

.macro _v_cmpx_o_i64 dst, src0, src1=
   v_cmpx_o_i64 \dst, \src0, \src1 
.endm

.macro _v_cmpx_o_u16 dst, src0, src1=
   v_cmpx_o_u16 \dst, \src0, \src1 
.endm

.macro _v_cmpx_o_u32 dst, src0, src1=
   v_cmpx_o_u32 \dst, \src0, \src1 
.endm

.macro _v_cmpx_o_u64 dst, src0, src1=
   v_cmpx_o_u64 \dst, \src0, \src1 
.endm

.macro _v_cmpx_u_i16 dst, src0, src1=
   v_cmpx_u_i16 \dst, \src0, \src1 
.endm

.macro _v_cmpx_u_i32 dst, src0, src1=
   v_cmpx_u_i32 \dst, \src0, \src1 
.endm

.macro _v_cmpx_u_i64 dst, src0, src1=
   v_cmpx_u_i64 \dst, \src0, \src1 
.endm

.macro _v_cmpx_u_u16 dst, src0, src1=
   v_cmpx_u_u16 \dst, \src0, \src1 
.endm

.macro _v_cmpx_u_u32 dst, src0, src1=
   v_cmpx_u_u32 \dst, \src0, \src1 
.endm

.macro _v_cmpx_u_u64 dst, src0, src1=
   v_cmpx_u_u64 \dst, \src0, \src1 
.endm
.macro _v_mac_f32 c:req, a:req, b:req
    v_fmac_f32 \c, \a, \b
.endmacro

/* scale global load macros */
.macro _s_load_b32 dst base offset
    s_load_dword \dst \base \offset
.endm

.macro _s_load_b64 dst base offset
    s_load_dwordx2 \dst \base \offset
.endm

.macro _s_load_b128 dst base offset
    s_load_dwordx4 \dst \base \offset
.endm

.macro _s_load_b256 dst base offset
    s_load_dwordx8 \dst \base \offset
.endm

.macro _s_load_b512 dst base offset
    s_load_dwordx16 \dst \base \offset
.endm


/* ds operation macros */
.macro _ds_load_u8 dst src offset
    ds_read_u8 \dst \src \offset
.endm

.macro _ds_load_u8_d16_hi dst src offset
    ds_read_u8_d16_hi \dst \src \offset
.endm

.macro _ds_load_u16 dst src offset
    ds_read_u16 \dst \src \offset
.endm

.macro _ds_load_u16_d16_hi dst src offset
    ds_read_u16_d16_hi \dst \src \offset
.endm

.macro _ds_load_b32 dst src offset
    ds_read_b32 \dst \src \offset
.endm

.macro _ds_load_b64 dst src offset
    ds_read_b64 \dst \src \offset
.endm

.macro _ds_load_b128 dst src offset
    ds_read_b128 \dst \src \offset
.endm

.macro _ds_store_b8 dst src offset
    ds_write_b8 \dst \src \offset
.endm

.macro _ds_store_b8_d16_hi dst src offset
    ds_write_b8_d16_hi \dst \src \offset
.endm

.macro _ds_store_b16 dst src offset
    ds_write_b16 \dst \src \offset
.endm

.macro _ds_store_b16_d16_hi dst src offset
    ds_write_b16_d16_hi \dst \src \offset
.endm

.macro _ds_store_b32 dst src offset
    ds_write_b32 \dst \src \offset
.endm

.macro _ds_store_b64 dst src offset
    ds_write_b64 \dst \src \offset
.endm

.macro _ds_store_b128 dst src offset
    ds_write_b128 \dst \src \offset
.endm

.macro _ds_load2_b32 dst src offset1 offset2
    ds_read2_b32 \dst \src \offset1 \offset2
.endm

.macro _ds_load2_b64 dst src offset1 offset2
    ds_read2_b64 \dst \src \offset1 \offset2
.endm

.macro _ds_store2_b32 dst src offset1 offset2
    ds_write2_b32 \dst \src \offset1 \offset2
.endm

.macro _ds_store2_b64 dst src offset1 offset2
    ds_write2_b64 \dst \src \offset1 \offset2
.endm


/* buffer memory operation macros */
.macro _buffer_load_b32 dst voffset base soffset offen ioffset md0 md1 md2
    buffer_load_dword \dst \voffset \base \soffset \offen \ioffset \md0 \md1 \md2
.endm

.macro _buffer_load_b64 dst voffset base soffset offen ioffset md0 md1 md2
    buffer_load_dwordx2 \dst \voffset \base \soffset \offen \ioffset \md0 \md1 \md2
.endm

.macro _buffer_load_b96 dst voffset base soffset offen ioffset md0 md1 md2
    buffer_load_dwordx3 \dst \voffset \base \soffset \offen \ioffset \md0 \md1 \md2
.endm

.macro _buffer_load_b128 dst voffset base soffset offen ioffset md0 md1 md2
    buffer_load_dwordx4 \dst \voffset \base \soffset \offen \ioffset \md0 \md1 \md2
.endm

.macro _buffer_load_d16_b16 dst voffset base soffset offen ioffset md0 md1 md2
    buffer_load_short_d16 \dst \voffset \base \soffset \offen \ioffset \md0 \md1 \md2
.endm

.macro _buffer_load_d16_hi_b16 dst voffset base soffset offen ioffset md0 md1 md2
    buffer_load_short_d16_hi \dst \voffset \base \soffset \offen \ioffset \md0 \md1 \md2
.endm

.macro _buffer_load_d16_u8 dst voffset base soffset offen ioffset md0 md1 md2
    buffer_load_ubyte_d16 \dst \voffset \base \soffset \offen \ioffset \md0 \md1 \md2
.endm

.macro _buffer_load_d16_hi_u8 dst voffset base soffset offen ioffset md0 md1 md2
    buffer_load_ubyte_d16_hi \dst \voffset \base \soffset \offen \ioffset \md0 \md1 \md2
.endm

.macro _buffer_load_u16 dst voffset base soffset offen ioffset md0 md1 md2
    buffer_load_ushort \dst \voffset \base \soffset \offen \ioffset \md0 \md1 \md2
.endm

.macro _buffer_load_b32_dtl voffset base soffset offen ioffset md0 md1 md2
    buffer_load_dword \voffset \base \soffset \offen \ioffset \md0 \md1 \md2
.endm

.macro _buffer_load_b64_dtl voffset base soffset offen ioffset md0 md1 md2
    buffer_load_dwordx2 \voffset \base \soffset \offen \ioffset \md0 \md1 \md2
.endm

.macro _buffer_load_b128_dtl voffset base soffset offen ioffset md0 md1 md2
    buffer_load_dwordx4 \voffset \base \soffset \offen \ioffset \md0 \md1 \md2
.endm

.macro _buffer_load_u16_dtl voffset base soffset offen ioffset md0 md1 md2
    buffer_load_ushort \voffset \base \soffset \offen \ioffset \md0 \md1 \md2
.endm

.macro _buffer_store_b32 src voffset base soffset offen ioffset md0 md1 md2
    buffer_store_dword \src \voffset \base \soffset \offen \ioffset \md0 \md1 \md2
.endm

.macro _buffer_store_b64 src voffset base soffset offen ioffset md0 md1 md2
    buffer_store_dwordx2 \src \voffset \base \soffset \offen \ioffset \md0 \md1 \md2
.endm

.macro _buffer_store_b96 src voffset base soffset offen ioffset md0 md1 md2
    buffer_store_dwordx3 \src \voffset \base \soffset \offen \ioffset \md0 \md1 \md2
.endm

.macro _buffer_store_b128 src voffset base soffset offen ioffset md0 md1 md2
    buffer_store_dwordx4 \src \voffset \base \soffset \offen \ioffset \md0 \md1 \md2
.endm

.macro _buffer_store_b16 src voffset base soffset offen ioffset md0 md1 md2
    buffer_store_short \src \voffset \base \soffset \offen \ioffset \md0 \md1 \md2
.endm

.macro _buffer_store_d16_hi_b16 src voffset base soffset offen ioffset md0 md1 md2
    buffer_store_short_d16_hi \src \voffset \base \soffset \offen \ioffset \md0 \md1 \md2
.endm

.macro _buffer_store_b8 src voffset base soffset offen ioffset md0 md1 md2
    buffer_store_byte \src \voffset \base \soffset \offen \ioffset \md0 \md1 \md2
.endm

.macro _buffer_store_d16_hi_b8 src voffset base soffset offen ioffset md0 md1 md2
    buffer_store_byte_d16_hi \src \voffset \base \soffset \offen \ioffset \md0 \md1 \md2
.endm

.macro _buffer_atomic_cmpswap_b32 dst voffset base soffset offen ioffset md0 md1 md2
    buffer_atomic_cmpswap \dst \voffset \base \soffset \offen \ioffset \md0 \md1 \md2
.endm

.macro _buffer_atomic_cmpswap_b64 dst voffset base soffset offen ioffset md0 md1 md2
    buffer_atomic_cmpswap_x2 \dst \voffset \base \soffset \offen \ioffset \md0 \md1 \md2
.endm


/* buffer memory operation macros */
.macro _global_load_b32 dst base src ioffset md0 md1 md2
    global_load_dword \dst \base \src \ioffset \md0 \md1 \md2
.endm

.macro _global_load_b64 dst base src ioffset md0 md1 md2
    global_load_dwordx2 \dst \base \src \ioffset \md0 \md1 \md2
.endm

.macro _global_load_b96 dst base src ioffset md0 md1 md2
    global_load_dwordx3 \dst \base \src \ioffset \md0 \md1 \md2
.endm

.macro _global_load_b128 dst base src ioffset md0 md1 md2
    global_load_dwordx4 \dst \base \src \ioffset \md0 \md1 \md2
.endm

.macro _global_load_d16_b16 dst base src ioffset md0 md1 md2
    global_load_short_d16 \dst \base \src \ioffset \md0 \md1 \md2
.endm

.macro _global_load_d16_hi_b16 dst base src ioffset md0 md1 md2
    global_load_short_d16_hi \dst \base \src \ioffset \md0 \md1 \md2
.endm

.macro _global_load_d16_u8 dst base src ioffset md0 md1 md2
    global_load_ubyte_d16 \dst \base \src \ioffset \md0 \md1 \md2
.endm

.macro _global_load_d16_hi_u8 dst base src ioffset md0 md1 md2
    global_load_ubyte_d16_hi \dst \base \src \ioffset \md0 \md1 \md2
.endm

.macro _global_load_u16 dst base src ioffset md0 md1 md2
    global_load_ushort \dst \base \src \ioffset \md0 \md1 \md2
.endm

.macro _global_store_b32 base src src2 md0 md1 md2
    global_store_dword \base \src \src2 \md0 \md1 \md2
.endm

.macro _global_store_b64 base src src2 md0 md1 md2
    global_store_dwordx2 \base \src \src2 \md0 \md1 \md2
.endm

.macro _global_store_b96 base src src2 md0 md1 md2
    global_store_dwordx3 \base \src \src2 \md0 \md1 \md2
.endm

.macro _global_store_b128 base src src2 md0 md1 md2
    global_store_dwordx4 \base \src \src2 \md0 \md1 \md2
.endm

.macro _global_store_d16_b16 base src src2 md0 md1 md2
    global_store_short \base \src \src2 \md0 \md1 \md2
.endm

.macro _global_store_d16_hi_b16 base src src2 md0 md1 md2
    global_store_short_d16_hi \base \src \src2 \md0 \md1 \md2
.endm

.macro _global_store_d16_u8 base src src2 md0 md1 md2
    global_store_ubyte_d16 \base \src \src2 \md0 \md1 \md2
.endm

.macro _global_store_d16_hi_u8 base src src2 md0 md1 md2
    global_store_ubyte_d16_hi \base \src \src2 \md0 \md1 \md2
.endm

.macro _global_store_u16 base src src2 md0 md1 md2
    global_store_ushort \base \src \src2 \md0 \md1 \md2
.endm

.macro _global_atomic_cmpswap_b32 tmp base data src ioffset md
    global_atomic_cmpswap \tmp \base \data \src \ioffset \md
.endm

.macro _global_atomic_cmpswap_b64 tmp base data src ioffset md
    global_atomic_cmpswap_x2 \tmp \base \data \src \ioffset \md
.endm


/******************************************/
/* Magic div and mod functions            */
/******************************************/
.macro V_MAGIC_DIV dstIdx:req, dividend:req, magicNumber:req, magicShift:req, magicA:req
    v_mul_hi_u32 v[\dstIdx+1], \dividend, \magicNumber
    v_mul_lo_u32 v[\dstIdx+0], \dividend, \magicA
    _v_add_u32 v[\dstIdx+0], v[\dstIdx+0], v[\dstIdx+1]
    v_lshrrev_b32 v[\dstIdx+0], \magicShift, v[\dstIdx+0]
.endm

/******************************************/
/* VGPR Assignments                       */
/******************************************/
/* ValuC range: [0-64), serializedStore enabled */
.set vgprValuC, 0
/* ValuA/B   Xn=PLR buffer idx,  In=InnerUnroll idx */
.set vgprValuA_X0_I0, 64
.set vgprValuA_X1_I0, 68
.set vgprValuA_X2_I0, 72
.set vgprValuA_X3_I0, 76
.set vgprG2LA, 104
.set vgprValuB_X0_I0, 80
.set vgprValuB_X1_I0, 84
.set vgprValuB_X2_I0, 88
.set vgprValuB_X3_I0, 92
.set vgprG2LB, 120
.set vgprLocalWriteAddrA, 96
.set vgprLocalWriteAddrB, 97
.set vgprGlobalReadOffsetA, 98
.set vgprGlobalReadOffsetB, 102
.set vgprLocalReadAddrA, 124
.set vgprLocalReadAddrB, 125
.set vgprG2Lpipe0, 126
.set vgprG2Lpipe1, 127
.set vgprSerial, 128
/* Num VGPR=168 */
/* Num AccVGPR=0 */

/******************************************/
/* SGPR Assignments                       */
/******************************************/
.set sgprKernArgAddress, 0 // (2)
.set sgprWorkGroup0, 2 // (1)
.set sgprWorkGroup1, 3 // (1)
.set sgprWorkGroup2, 4 // (1)
.set sgprLoopCounterL, 5 // (1)
.set sgprOrigLoopCounter, 6 // (1)
.set sgprSrdA, 8 // (4)
.set sgprSrdB, 12 // (4)
.set sgprSrdD, 16 // (4)
.set sgprSrdC, 20 // (4)
.set sgprTensor2dSizeA, 24 // (2)
.set sgprTensor2dSizeB, 26 // (2)
.set sgprAddressD, 28 // (2)
.set sgprAddressC, 30 // (2)
.set sgprAddressA, 32 // (2)
.set sgprAddressB, 34 // (2)
.set sgprAlpha, 36 // (1)
.set sgprBeta, 37 // (1)
.set sgprStridesD, 38 // (2)
.set sgprStridesC, 40 // (2)
.set sgprStridesA, 42 // (2)
.set sgprStridesB, 44 // (2)
.set sgprSizesFree, 46 // (3)
.set sgprSizesSum, 49 // (1)
.set sgprNumWorkGroups0, 50 // (1)
.set sgprNumWorkGroups1, 51 // (1)
.set sgprNumFullBlocks, 52 // (1)
.set sgprWgmRemainder1, 53 // (1)
.set sgprMagicNumberWgmRemainder1, 54 // (1)
.set sgprShadowLimitA, 0 // (2)
.set sgprShadowLimitB, 28 // (2)
.set sgprGlobalReadIncsA, 7 // (1)
.set sgprGlobalReadIncsB, 30 // (1)
/* max SGPR=58 */

/* Size Assignments */
.set sgprSizeI, sgprSizesFree+0
.set sgprSizeJ, sgprSizesFree+1
.set sgprSizeK, sgprSizesFree+2
.set sgprSizeL, sgprSizesSum+0

/* Stride Assignments */
.set constStrideD0I, 1
.set sgprStrideD1J, sgprStridesD+0
.set sgprStrideDK, sgprStridesD+1
.set constStrideC0I, 1
.set sgprStrideC1J, sgprStridesC+0
.set sgprStrideCK, sgprStridesC+1
.set constStrideA0I, 1
.set sgprStrideAL, sgprStridesA+0
.set sgprStrideAK, sgprStridesA+1
.set constStrideBL, 1
.set sgprStrideB1J, sgprStridesB+0
.set sgprStrideBK, sgprStridesB+1

.set MT0, 256
.set MT1, 64
.set DepthU, 32
.set GSU, 1
.set BpeA, 2
.set BpeALog2, 1
.set BpeB, 2
.set BpeBLog2, 1
/* Number of elements to shift-left SRD */
.set SrdShiftLeftA, 8
.set SrdShiftLeftB, 8
/* 2GB limit - set offsets to -1 to exceed this and clamp */
.set BufferLimitA, 0xffffffff
.set BufferLimitB, 0xffffffff
.set BufferOOB, 0xfffff000

/******************************************/
/* Bits 127:96 of SRD.                    */
/* hex: 0x00020000                        */
/* dst_sel_x (3b): 0                      */
/* dst_sel_y (3b): 0                      */
/* dst_sel_z (3b): 0                      */
/* dst_sel_w (3b): 0                      */
/* num_format (3b): 0                     */
/* data_format (4b): 4                    */
/* user_vm_enable (1b): 0                 */
/* user_vm_mode (1b): 0                   */
/* index_stride (2b): 0                   */
/* add_tid_enable (1b): 0                 */
/* _unusedA (3b): 0                       */
/* nv (1b): 0                             */
/* _unusedB (2b): 0                       */
/* type (2b): 0                           */
/******************************************/
.set Srd127_96, 0x00020000

/* Global Offset A */
.macro GLOBAL_OFFSET_A vgprAddr:req vgprOffset0I:req vgprOffsetL:req vgprTmp:req
v_mul_lo_u32 v[\vgprTmp+0], s[sgprStrideAL], v[\vgprOffsetL] // mul d1 lower
_v_add_co_u32 v[\vgprAddr+0], vcc, v[\vgprOffset0I], v[\vgprTmp+0] // accumulate K lower
_v_add_u32 v[\vgprAddr+0], 0x8, v[\vgprAddr+0]     // add prepad for pointer shift
v_lshlrev_b32 v[\vgprAddr+0], 0x1, v[\vgprAddr+0]  // offset *= bytes/element
.endm

/* Global Offset B */
.macro GLOBAL_OFFSET_B vgprAddr:req vgprOffsetL:req vgprOffset1J:req vgprTmp:req
v_mul_lo_u32 v[\vgprTmp+0], s[sgprStrideB1J], v[\vgprOffset1J] // mul d1 lower
_v_add_co_u32 v[\vgprAddr+0], vcc, v[\vgprOffsetL], v[\vgprTmp+0] // accumulate K lower
_v_add_u32 v[\vgprAddr+0], 0x8, v[\vgprAddr+0]     // add prepad for pointer shift
v_lshlrev_b32 v[\vgprAddr+0], 0x1, v[\vgprAddr+0]  // offset *= bytes/element
.endm

/******************************************/
/* Dynamic Scalar Divide: vQuotient=vDividend/vDivisor; vRemainder=vDividend%vDivisor; */
/******************************************/
.macro DYNAMIC_VECTOR_DIVIDE vQuotient vRemainder vDividend vDivisor vTmp0 vTmp1 sTmp
v_cvt_f32_u32 v[\vQuotient], v[\vDivisor]          // 
v_rcp_f32 v[\vQuotient], v[\vQuotient]             // 
v_mul_f32 v[\vQuotient], 0x4f800000, v[\vQuotient] // 
v_cvt_u32_f32 v[\vQuotient], v[\vQuotient]         // 
v_mul_lo_u32 v[\vRemainder], v[\vDivisor], v[\vQuotient] // 
v_mul_hi_u32 v[\vTmp0], v[\vDivisor], v[\vQuotient] // 
_v_sub_co_u32 v[\vTmp1], vcc, 0x0, v[\vRemainder]  // 
v_cmp_ne_i32 s[\sTmp:\sTmp+1], 0x0, v[\vTmp0]      // 
v_cndmask_b32 v[\vRemainder], v[\vTmp1], v[\vRemainder], s[\sTmp:\sTmp+1] // 
v_mul_hi_u32 v[\vRemainder], v[\vRemainder], v[\vQuotient] // 
_v_sub_co_u32 v[\vTmp0], vcc, v[\vQuotient], v[\vRemainder] // 
_v_add_co_u32 v[\vQuotient], vcc, v[\vQuotient], v[\vRemainder] // 
v_cndmask_b32 v[\vQuotient], v[\vQuotient], v[\vTmp0], s[\sTmp:\sTmp+1] // 
v_mul_hi_u32 v[\vQuotient], v[\vQuotient], v[\vDividend] // 
v_mul_lo_u32 v[\vRemainder], v[\vQuotient], v[\vDivisor] // 
_v_sub_co_u32 v[\vTmp0], vcc, v[\vDividend], v[\vRemainder] // 
v_cmp_ge_u32 s[\sTmp:\sTmp+1], v[\vDividend], v[\vRemainder] // 
_v_add_co_u32 v[\vRemainder], vcc, 0x1, v[\vQuotient] // 
_v_add_co_u32 v[\vTmp1], vcc, -1, v[\vQuotient]    // 
v_cmp_le_u32 vcc, v[\vDivisor], v[\vTmp0]          // 
s_and_b64 vcc, s[\sTmp:\sTmp+1], vcc               // 
v_cndmask_b32 v[\vQuotient], v[\vQuotient], v[\vRemainder], vcc // 
v_cndmask_b32 v[\vQuotient], v[\vTmp1], v[\vQuotient], s[\sTmp:\sTmp+1] // 
v_cmp_ne_i32 vcc, 0x0, v[\vDivisor]                // 
v_cndmask_b32 v[\vQuotient], -1, v[\vQuotient], vcc // final result
v_mul_lo_u32 v[\vRemainder], v[\vQuotient], v[\vDivisor] // 
_v_sub_co_u32 v[\vRemainder], vcc, v[\vDividend], v[\vRemainder] // final result
.endm


	;; [unrolled: 1-line block ×3, first 2 shown]
/******************************************/
/* Allocate Resources                     */
/******************************************/

Cijk_Ailk_Bljk_HHS_BHR_MT256x64x32_MI32x32x8x1_SN_1LDSB1_AF0EM1_AF1EM1_AMAS3_ASE_ASLT_ASEM1_BL1_EPS0_GLVWA8_GLVWB8_GRVW8_GSU1_GSUASB_ISA90a_IU1_K1_KLA_LBSPPB128_LPA0_LPB8_LDL1_LRVW4_LDW0_FMA_MIAV1_MMFGLC_NTC0_NTD0_NEPBS0_NLCA1_NLCB1_PGR2_PLR5_SIA3_SS1_SU0_SUM0_SUS0_SPO0_SRVW0_SSO0_SVW2_TT2_64_TLDS1_UMLDSB1_USFGROn1_VAW2_VSn1_VW2_VWB2_WSGRA0_WSGRB0_WG128_2_1_WGM8_preloaded: // Kernel start when preloading

/* Load Kernel Args */
_s_load_b512 s[24:39], s[sgprKernArgAddress:sgprKernArgAddress+1], 0x0 // 
_s_load_b256 s[40:47], s[sgprKernArgAddress:sgprKernArgAddress+1], 0x40 // 
_s_load_b128 s[48:51], s[sgprKernArgAddress:sgprKernArgAddress+1], 0x60 // 
_s_load_b64 s[52:53], s[sgprKernArgAddress:sgprKernArgAddress+1], 0x70 // 
_s_load_b32 s54, s[sgprKernArgAddress:sgprKernArgAddress+1], 0x78 // 
s_mov_b32 m0, 0x5200                               // LDS clamp at 20992 bytes
v_mov_b32 v[vgprSerial], v0                        // thread serial id

/******************************************/
/* Local Read Addresses                   */
/******************************************/


/* local read addresses: tile assignments a/b */

/*lr0I*/
v_and_b32 v1, 63, v[vgprSerial]                    // 0. thread id in wave: wtid = tid % wavelength(64)
v_and_b32 v0, 31, v1                               // 1. N offset: nIdx = wtid % MI_N(32)
                                                   // 1. N offset: nOffset = nIdx * nStride(1) (multiplier is 1, do nothing)
                                                   // 2. block offset: bnIdx = bnIdx % num1DBlocks(1) is 0. do nothing
v_lshlrev_b32 v0, 0x1, v0                          // 4. apply VectorWidth: bnOffset = bnOffset * vw(2)
v_lshrrev_b32 v1, 5, v1                            // 5. K offset: kIdx = wtid / (MIN(32) * MIBB(1))
v_lshlrev_b32 v1, 0xa, v1                          // 5. K offset: lrKOffset = kIdx * mStride(1024)
_v_add_u32 v0, v1, v0                              // 6. offset in wave: lrOffset = bnOffset + lrKOffset
v_lshrrev_b32 v2, 6, v[vgprSerial]                 // 7. wave offset in N dimen: wtid = tid / dividedForWaveId(64)
v_and_b32 v1, 3, v2                                // 7. wave offset in M dimen: wtid0 = wtid / num1DWaves(4)
v_lshlrev_b32 v1, 0x6, v1                          // 7. wave offset in M dimen: wOffset = wtid0 * W0Stride(64)
_v_add_u32 v0, v1, v0                              // 8. final local read offset: flrOffset = lrOffset + WOffset
/*lr1J*/
v_and_b32 v2, 63, v[vgprSerial]                    // 0. thread id in wave: wtid = tid % wavelength(64)
v_and_b32 v1, 31, v2                               // 1. N offset: nIdx = wtid % MI_N(32)
v_lshlrev_b32 v1, 0x5, v1                          // 1. N offset: nOffset = nIdx * nStride(32)
                                                   // 2. block offset: bnIdx = bnIdx % num1DBlocks(1) is 0. do nothing
v_lshlrev_b32 v1, 0x1, v1                          // 4. apply VectorWidth: bnOffset = bnOffset * vw(2)
v_lshrrev_b32 v2, 5, v2                            // 5. K offset: kIdx = wtid / (MIN(32) * MIBB(1))
v_lshlrev_b32 v2, 0x2, v2                          // 5. K offset: lrKOffset = kIdx * mStride(4)
_v_add_u32 v1, v2, v1                              // 6. offset in wave: lrOffset = bnOffset + lrKOffset


/* local read addresses: final offsets a */

v_lshlrev_b32 v[vgprLocalReadAddrA], 0x1, v0       // Final Offset: offset = (lro0)*bpe


/* local read addresses: final offsets b */

v_lshlrev_b32 v[vgprLocalReadAddrB], 0x1, v1       // Final Offset: offset = (lro1)*bpe
v_lshrrev_b32 v0, 7, v[vgprLocalReadAddrB]         // Final Offset: padding 8 per block 128
v_lshlrev_b32 v0, 0x4, v0                          // Final Offset: padding 8 per block 128
_v_add_u32 v[vgprLocalReadAddrB], v0, v[vgprLocalReadAddrB] // Final Offset: add padding 8 per block 128


/* local read addresses: declare addresses a */

/* N/A */


/* local read addresses: declare addresses b */

_v_add_co_u32 v[vgprLocalReadAddrB+0], vcc, 0x4000, v[vgprLocalReadAddrB+0] //  += LdsOffsetB (lower)


/* global read addresses: tile offset assignment a */

/* LVCA = 32 */
/* v0 = (local)groA-tile = serial%LVCA (note (wgA*MTA) will be added to SRD) */
/* v1 = groA-unroll = serial/LVCA */
v_lshrrev_b32 v1, 5, v[vgprSerial]                 // v1 = v[vgprSerial] / 32
v_and_b32 v0, 31, v[vgprSerial]                    // v0 = v[vgprSerial] % 32
/* gro-tile *= glvw */
v_lshlrev_b32 v0, 0x3, v0                          // v0 = v0 * 8


/* global read addresses: tile offset assignment b */

/* LVCB = 4 */
/* v2 = (local)groB-tile = serial/LVCB (note (wgB*MTB) will be added to SRD) */
/* v3 = groB-unroll = serial%LVCB */
v_lshrrev_b32 v2, 2, v[vgprSerial]                 // v2 = v[vgprSerial] / 4
v_and_b32 v3, 3, v[vgprSerial]                     // v3 = v[vgprSerial] % 4
/* gro-unroll *= glvw */
v_lshlrev_b32 v3, 0x3, v3                          // v3 = v3 * 8


/******************************************/
/* Local Write Addresses                  */
/******************************************/

/* lwaTileAssignmentA = v0 */

/* lwaTileAssignmentB = v2 */

/* lwaUnrollAssignmentA = v1 */

/* lwaUnrollAssignmentB = v3 */


/* local write addresses: first offset a */

v_mul_u32_u24 v[vgprLocalWriteAddrA], 0x100, v1    // lwAL**(MTA + PAD)
_v_add_lshl_u32 v[vgprLocalWriteAddrA], v0, v[vgprLocalWriteAddrA], 0x1 // lwFOA = (lwAA + lwAL*(MT0I+PAD))*bpe


/* local write addresses: first offset b */

v_mul_u32_u24 v[vgprLocalWriteAddrB], 0x20, v2     // lwBL**(DepthU_Compute + PAD)
_v_add_lshl_u32 v[vgprLocalWriteAddrB], v3, v[vgprLocalWriteAddrB], 0x1 // lwFOB = (lwBB + lwBL*(DepthU+PAD))*bpe
v_lshrrev_b32 v4, 7, v[vgprLocalWriteAddrB]        // padding 8 per block 128
v_lshlrev_b32 v4, 0x4, v4                          // padding 8 per block 128
_v_add_u32 v[vgprLocalWriteAddrB], v4, v[vgprLocalWriteAddrB] // add padding 8 per block 128
_v_add_co_u32 v[vgprLocalWriteAddrB], vcc, 0x4000, v[vgprLocalWriteAddrB] // lwFOB = lwB1J + lwBL*MT1J + LDS_OFFSET_B=8192*2


	;; [unrolled: 1-line block ×7, first 2 shown]
s_waitcnt lgkmcnt(0)                               // wait for 124 bytes of kern args
s_mov_b64 s[sgprSrdC+0:sgprSrdC+0+1], s[sgprAddressC+0:sgprAddressC+0+1] // copy addressC
s_mov_b64 s[sgprSrdD+0:sgprSrdD+0+1], s[sgprAddressD+0:sgprAddressD+0+1] // copy addressD
s_sub_u32 s[sgprSrdA+0], s[sgprAddressA+0], 16     // pre-pad to make room for possible pointer shift
s_subb_u32 s[sgprSrdA+1], s[sgprAddressA+1], 0     // pre-pad to make room for possible pointer shift
s_sub_u32 s[sgprSrdB+0], s[sgprAddressB+0], 16     // pre-pad to make room for possible pointer shift
s_subb_u32 s[sgprSrdB+1], s[sgprAddressB+1], 0     // pre-pad to make room for possible pointer shift

.set AddressD, UNDEF
.set AddressC, UNDEF
.set AddressA, UNDEF
.set AddressB, UNDEF

/* Short circuit condition if Alpha == 0, then sumDims=0 */
v_cmp_eq_f32 vcc, s[sgprAlpha], 0.0                // Alpha == 0.0f ?
s_cbranch_vccz label_AlphaNonZero                  // branch if alpha != 0
s_mov_b32 s[sgprSizesSum+0], 0x0                   // Set summation dim=0 if Alpha == 0
label_AlphaNonZero:


	;; [unrolled: 1-line block ×3, first 2 shown]
/******************************************/
/* Begin setupNewTile, isPap=False           */
/******************************************/


/* global read addresses: work-group */

/* graWorkGroup mapping */
s_mov_b32 s35, 0x10000001L                         // magic number for WGM==8
s_mul_hi_u32 s33, s[sgprWorkGroup1], s35           // s_magic mul
s_mul_i32 s32, s[sgprWorkGroup1], s35              // s_magic mul
s_lshr_b64 s[32:33], s[32:33], 31                  // sMagicDiv
s_mul_i32 s33, s32, 8                              // quotient * non-magic divisor
s_sub_u32 s33, s[sgprWorkGroup1], s33              // WorkGroup1=remainder
s_mul_i32 s33, s33, s[sgprNumWorkGroups0]          // (wg1 % WGM)*nwg0
s_add_u32 s33, s33, s[sgprWorkGroup0]              // wgSerial = wg0 + (wg1 % WGM)*nwg1
s_cmp_ge_u32 s32, s[sgprNumFullBlocks]             // blockId >= numFullBlocks ?
s_cmov_b32 s35, s[sgprMagicNumberWgmRemainder1]    // 
s_cselect_b32 s34, s[sgprWgmRemainder1], 8         // 
s_mul_hi_u32 s3, s33, s35                          // s_magic mul
s_mul_i32 s2, s33, s35                             // s_magic mul
s_lshr_b64 s[2:3], s[2:3], 31                      // sMagicDiv
s_mul_i32 s[sgprWorkGroup1], s[sgprWorkGroup0], s34 // quotient * non-magic divisor
s_sub_u32 s[sgprWorkGroup1], s33, s[sgprWorkGroup1] // WorkGroup1=remainder
s_mul_i32 s32, s32, 8                              // blockId * WGM
s_add_u32 s[sgprWorkGroup1], s[sgprWorkGroup1], s32 // wg1 += blockId * WGM


/* global read addresses: unroll assignment a */

/* v1 */


/* global read addresses: unroll assignment b */

/* v3 */


/* global read addresses: other free assignments */

/* s[sgprWorkGroup2] */


/* global read addresses: tile offsets a */

v_mov_b32 v4, v0                                   // groA0I_0


/* global read addresses: tile offsets b */

v_mov_b32 v5, v2                                   // groB1J_0


/* global read addresses: unroll offsets a */

v_mov_b32 v6, v1                                   // groAL_0
_v_add_co_u32 v7, vcc, 8, v6                       // groAL_1 + LSPA
_v_add_co_u32 v8, vcc, 8, v7                       // groAL_2 + LSPA
_v_add_co_u32 v9, vcc, 8, v8                       // groAL_3 + LSPA


/* global read addresses: unroll offsets b */

v_mov_b32 v10, v3                                  // groBL_0


/* global read addresses: shift a */

s_mul_i32 s31, s[sgprWorkGroup0], 256              // WorkGroup[01] * MT
s_sub_u32 s31, s[sgprSizeI], s31                   // edge = Size0I - WG*MT
s_sub_u32 s31, s31, 8                              // edge -= margin(8)
v_mov_b32 v11, s31                                 // edge vgpr = Size0I- WG*MT - margin(8)
v_min_i32 v4, v11, v4                              // offset = (offset < edge) ? offset(v4) : edge(v11)


/* global read addresses: final offsets a */

GLOBAL_OFFSET_A vgprGlobalReadOffsetA+0,  4,  6, 11 // gROA_0_0_0_0
GLOBAL_OFFSET_A vgprGlobalReadOffsetA+1,  4,  7, 11 // gROA_0_0_1_0
GLOBAL_OFFSET_A vgprGlobalReadOffsetA+2,  4,  8, 11 // gROA_0_0_2_0
GLOBAL_OFFSET_A vgprGlobalReadOffsetA+3,  4,  9, 11 // gROA_0_0_3_0


/* global read addresses: final offsets b */

GLOBAL_OFFSET_B vgprGlobalReadOffsetB+0, 10,  5, 6 // gROB_0_0_0_0


/* global read addresses: addresses a */

/* max read offset = size[n] * stride[n-1] */
s_mul_hi_u32 s35, s[sgprWorkGroup0], 256           // WorkGroup[01] * MT
s_mul_i32 s34, s[sgprWorkGroup0], 256              // WorkGroup[01] * MT
s_sub_u32 s[sgprShadowLimitA+0], s[sgprTensor2dSizeA], s34 // sub tileStart
s_subb_u32 s[sgprShadowLimitA+1], s[sgprTensor2dSizeA+1], s35 // sub tileStart
s_lshl_b64 s[sgprShadowLimitA:sgprShadowLimitA+1], s[sgprShadowLimitA:sgprShadowLimitA+1], 0x1 // Set limit to use bytes
s_add_u32 s[sgprShadowLimitA+0], s[sgprShadowLimitA+0], 16 // extend limit for pre-pad
s_addc_u32 s[sgprShadowLimitA+1], s[sgprShadowLimitA+1], 0 // extend limit for pre-pad
s_cmp_eq_u32 s[sgprShadowLimitA+1], 0              // are we within 2^32?
s_cselect_b32 s[sgprSrdA+2], s[sgprShadowLimitA+0], BufferLimitA // Move shadow to real if we are within 2^32
s_mul_hi_u32 s33, s[sgprStrideAK], s[sgprWorkGroup2] // Stride*WG
s_mul_i32 s32, s[sgprStrideAK], s[sgprWorkGroup2]  // Stride*WG
s_add_u32 s34, s34, s32                            // accum wg term to tilestart
s_addc_u32 s35, s35, s33                           // accum wg term to tilestart
s_lshl_b64 s[34:35], s[34:35], 0x1                 // tileStart *= BPE
s_add_u32 s[sgprSrdA+0], s[sgprSrdA+0], s34        // SRD base = Address+ tileStart0
s_addc_u32 s[sgprSrdA+1], s[sgprSrdA+1], s35       // SRD base = Address+ tileStart1
s_mov_b32 s[sgprSrdA+3], Srd127_96                 // Set bits 127_96 in SRD


/* global read addresses: addresses b */

/* max read offset = size[n] * stride[n-1] */
s_mul_hi_u32 s35, s[sgprWorkGroup1], 64            // WorkGroup[01] * MT
s_mul_i32 s34, s[sgprWorkGroup1], 64               // WorkGroup[01] * MT
s_mul_hi_u32 s35, s34, s[sgprStrideB1J]            // tlu=0, scaled tile-offset by stride
s_mul_i32 s34, s34, s[sgprStrideB1J]               // tlu=0, scaled tile-offset by stride
s_sub_u32 s[sgprShadowLimitB+0], s[sgprTensor2dSizeB], s34 // sub tileStart
s_subb_u32 s[sgprShadowLimitB+1], s[sgprTensor2dSizeB+1], s35 // sub tileStart
s_lshl_b64 s[sgprShadowLimitB:sgprShadowLimitB+1], s[sgprShadowLimitB:sgprShadowLimitB+1], 0x1 // Set limit to use bytes
s_add_u32 s[sgprShadowLimitB+0], s[sgprShadowLimitB+0], 16 // extend limit for pre-pad
s_addc_u32 s[sgprShadowLimitB+1], s[sgprShadowLimitB+1], 0 // extend limit for pre-pad
s_cmp_eq_u32 s[sgprShadowLimitB+1], 0              // are we within 2^32?
s_cselect_b32 s[sgprSrdB+2], s[sgprShadowLimitB+0], BufferLimitB // Move shadow to real if we are within 2^32
s_mul_hi_u32 s33, s[sgprStrideBK], s[sgprWorkGroup2] // Stride*WG
s_mul_i32 s32, s[sgprStrideBK], s[sgprWorkGroup2]  // Stride*WG
s_add_u32 s34, s34, s32                            // accum wg term to tilestart
s_addc_u32 s35, s35, s33                           // accum wg term to tilestart
s_lshl_b64 s[34:35], s[34:35], 0x1                 // tileStart *= BPE
s_add_u32 s[sgprSrdB+0], s[sgprSrdB+0], s34        // SRD base = Address+ tileStart0
s_addc_u32 s[sgprSrdB+1], s[sgprSrdB+1], s35       // SRD base = Address+ tileStart1
s_mov_b32 s[sgprSrdB+3], Srd127_96                 // Set bits 127_96 in SRD


/* global read addresses: increments a */

s_mul_i32 s[sgprGlobalReadIncsA+0], DepthU*BpeA, s[sgprStrideAL] // incrA unrollIdx)


/* global read addresses: increments b */

s_mov_b32 s[sgprGlobalReadIncsB+0], DepthU*BpeB    // incrB (unrollIdx)

/* declare loop num iterations */


s_lshr_b32 s[sgprLoopCounterL], s[sgprSizesSum+0], 5 // s[sgprLoopCounterL] = s[sgprSizesSum+0] / 32
s_mov_b32 s[sgprOrigLoopCounter], s[sgprLoopCounterL] // copy loop counter

/* local read addresses: init pointers a */


/* localReadInitPointers */

/* local read addresses: init pointers b */


/* localReadInitPointers */


/* prefetch: global -> local */

s_cmp_eq_u32 s[sgprLoopCounterL], 0                // at last iteration?
s_cbranch_scc1 ShadowInitStart_10                  // skip to ShadowInitStart iter b/c numIter==0


_buffer_load_b128 v[vgprG2LA+0:vgprG2LA+0+3], v[vgprGlobalReadOffsetA+0], s[sgprSrdA:sgprSrdA+3], 0, offen offset:0 // G -> Reg 0_0_0_0
_buffer_load_b128 v[vgprG2LA+4:vgprG2LA+4+3], v[vgprGlobalReadOffsetA+1], s[sgprSrdA:sgprSrdA+3], 0, offen offset:0 // G -> Reg 0_0_1_0
_buffer_load_b128 v[vgprG2LA+8:vgprG2LA+8+3], v[vgprGlobalReadOffsetA+2], s[sgprSrdA:sgprSrdA+3], 0, offen offset:0 // G -> Reg 0_0_2_0
_buffer_load_b128 v[vgprG2LA+12:vgprG2LA+12+3], v[vgprGlobalReadOffsetA+3], s[sgprSrdA:sgprSrdA+3], 0, offen offset:0 // G -> Reg 0_0_3_0


_buffer_load_b128 v[vgprG2LB+0:vgprG2LB+0+3], v[vgprGlobalReadOffsetB+0], s[sgprSrdB:sgprSrdB+3], 0, offen offset:0 // G -> Reg 0_0_0_0


/* global read inc A loopL */
s_add_u32 s[sgprSrdA+0], s[sgprSrdA+0], s[sgprGlobalReadIncsA+0] // gra SRD += inc(lower)
s_addc_u32  s[sgprSrdA+1], s[sgprSrdA+1], 0        // gra SRD += inc(upper)
s_sub_u32 s[sgprShadowLimitA+0], s[sgprShadowLimitA+0], s[sgprGlobalReadIncsA+0] // limit -= inc)
s_subb_u32 s[sgprShadowLimitA+1], s[sgprShadowLimitA+1], 0 // limit -= inc)
s_cmp_eq_u32 s[sgprShadowLimitA+1], 0              // are we within 2^32?
s_cmov_b32 s[sgprSrdA+2], s[sgprShadowLimitA+0]    // Move shadow to real if we are within 2^32

/* global read inc B loopL */
s_add_u32 s[sgprSrdB+0], s[sgprSrdB+0], s[sgprGlobalReadIncsB+0] // gra SRD += inc(lower)
s_addc_u32  s[sgprSrdB+1], s[sgprSrdB+1], 0        // gra SRD += inc(upper)
s_sub_u32 s[sgprShadowLimitB+0], s[sgprShadowLimitB+0], s[sgprGlobalReadIncsB+0] // limit -= inc)
s_subb_u32 s[sgprShadowLimitB+1], s[sgprShadowLimitB+1], 0 // limit -= inc)
s_cmp_eq_u32 s[sgprShadowLimitB+1], 0              // are we within 2^32?
s_cmov_b32 s[sgprSrdB+2], s[sgprShadowLimitB+0]    // Move shadow to real if we are within 2^32


/******************************************/
/* End setupNewTile, isPap=False             */
/******************************************/

ShadowInitStart_10: // 

s_mov_b32 s[sgprSrdD+2], BufferOOB                 // 
s_mov_b32 s[sgprSrdD+3], Srd127_96                 // Set bits 127_96 in post-loop SRD

s_mov_b32 s[sgprSrdC+2], BufferOOB                 // 
s_mov_b32 s[sgprSrdC+3], Srd127_96                 // Set bits 127_96 in post-loop SRD


s_mul_i32 s34, MT1, s[sgprWorkGroup1]              // <- wg1*MT1
s_mul_hi_u32 s33, s34, s[sgprStrideC1J]            // CScale s34 by Stride
s_mul_i32 s32, s34, s[sgprStrideC1J]               // CScale s34 by Stride
s_lshl_b64 s[32:33], s[32:33], 1                   // scale by bpe
s_add_u32 s[sgprSrdC+0], s[sgprSrdC+0], s32        // add lo to SRD
s_addc_u32 s[sgprSrdC+1], s[sgprSrdC+1], s33       // add hi to SRD
s_mul_hi_u32 s33, s34, s[sgprStrideD1J]            // Scale s34 by Stride
s_mul_i32 s32, s34, s[sgprStrideD1J]               // Scale s34 by Stride
s_lshl_b64 s[32:33], s[32:33], 1                   // scale by bpe
s_add_u32 s[sgprSrdD+0], s[sgprSrdD+0], s32        // add lo to SRD
s_addc_u32 s[sgprSrdD+1], s[sgprSrdD+1], s33       // add hi to SRD

s_mul_hi_u32 s33, s[sgprWorkGroup2], s[sgprStrideCK] // CScale s[sgprWorkGroup2] by Stride
s_mul_i32 s32, s[sgprWorkGroup2], s[sgprStrideCK]  // CScale s[sgprWorkGroup2] by Stride
s_lshl_b64 s[32:33], s[32:33], 1                   // scale by bpe
s_add_u32 s[sgprSrdC+0], s[sgprSrdC+0], s32        // add lo to SRD
s_addc_u32 s[sgprSrdC+1], s[sgprSrdC+1], s33       // add hi to SRD
s_mul_hi_u32 s33, s[sgprWorkGroup2], s[sgprStrideDK] // Scale s[sgprWorkGroup2] by Stride
s_mul_i32 s32, s[sgprWorkGroup2], s[sgprStrideDK]  // Scale s[sgprWorkGroup2] by Stride
s_lshl_b64 s[32:33], s[32:33], 1                   // scale by bpe
s_add_u32 s[sgprSrdD+0], s[sgprSrdD+0], s32        // add lo to SRD
s_addc_u32 s[sgprSrdD+1], s[sgprSrdD+1], s33       // add hi to SRD


	;; [unrolled: 1-line block ×3, first 2 shown]
/* initC: remove C-tile 0-64 from pool */

/* initC: remove AB-tile 64-96 from pool */
v_mov_b32 v[vgprValuC+0], 0x0                      // initC
v_mov_b32 v[vgprValuC+1], 0x0                      // initC
	;; [unrolled: 1-line block ×10, first 2 shown]
v_mov_b32 v[vgprValuC+10], 0x0                     // initC
v_mov_b32 v[vgprValuC+11], 0x0                     // initC
	;; [unrolled: 1-line block ×54, first 2 shown]

s_cmp_eq_u32 s[sgprLoopCounterL], 0                // at last iteration?

/* after InitC, skip to end of prefetch last iter if numIter==0 */
s_cbranch_scc0 label_NoBranch_11                   // Only branch on scc1
s_getpc_B64 s[32:33]                               // addr of next instr
s_add_i32 s34, PrefetchGlobalLastIterEnd_5, 0x4    // target branch offset
s_add_u32 s32, s32, s34                            // add target branch offset
s_addc_u32 s33, s33, 0                             // add high and carry
s_setpc_b64 s[32:33]                               // branch to PrefetchGlobalLastIterEnd_5
label_NoBranch_11:

s_waitcnt vmcnt(0)                                 // lgkmcnt=-1 vmcnt=0 8wait for global read


/* local write a */
v_cvt_f32_f16 v[vgprG2Lpipe0], v[vgprG2LA+0]       // 
v_cvt_f32_f16 v[vgprG2Lpipe1], v[vgprG2LA+0], src0_sel:WORD_1 // 
v_pack_b32_f16 v[vgprG2LA+0], v[vgprG2Lpipe0], v[vgprG2Lpipe1], op_sel:[1,1,0] // 
v_cvt_f32_f16 v[vgprG2Lpipe0], v[vgprG2LA+1]       // 
v_cvt_f32_f16 v[vgprG2Lpipe1], v[vgprG2LA+1], src0_sel:WORD_1 // 
v_pack_b32_f16 v[vgprG2LA+1], v[vgprG2Lpipe0], v[vgprG2Lpipe1], op_sel:[1,1,0] // 
	;; [unrolled: 3-line block ×4, first 2 shown]
_ds_store_b128 v[vgprLocalWriteAddrA], v[vgprG2LA+0:vgprG2LA+0+3] offset:0 // lwoA_0_0_0_0 = (0*LSCA) + (0*LSPA)(*MT0I+PAD) = 0
v_cvt_f32_f16 v[vgprG2Lpipe0], v[vgprG2LA+4]       // 
v_cvt_f32_f16 v[vgprG2Lpipe1], v[vgprG2LA+4], src0_sel:WORD_1 // 
v_pack_b32_f16 v[vgprG2LA+4], v[vgprG2Lpipe0], v[vgprG2Lpipe1], op_sel:[1,1,0] // 
v_cvt_f32_f16 v[vgprG2Lpipe0], v[vgprG2LA+5]       // 
v_cvt_f32_f16 v[vgprG2Lpipe1], v[vgprG2LA+5], src0_sel:WORD_1 // 
v_pack_b32_f16 v[vgprG2LA+5], v[vgprG2Lpipe0], v[vgprG2Lpipe1], op_sel:[1,1,0] // 
	;; [unrolled: 3-line block ×4, first 2 shown]
_ds_store_b128 v[vgprLocalWriteAddrA], v[vgprG2LA+4:vgprG2LA+4+3] offset:4096 // lwoA_0_0_1_0 = (0*LSCA) + (1*LSPA)(*MT0I+PAD) = 4096
v_cvt_f32_f16 v[vgprG2Lpipe0], v[vgprG2LA+8]       // 
v_cvt_f32_f16 v[vgprG2Lpipe1], v[vgprG2LA+8], src0_sel:WORD_1 // 
v_pack_b32_f16 v[vgprG2LA+8], v[vgprG2Lpipe0], v[vgprG2Lpipe1], op_sel:[1,1,0] // 
v_cvt_f32_f16 v[vgprG2Lpipe0], v[vgprG2LA+9]       // 
v_cvt_f32_f16 v[vgprG2Lpipe1], v[vgprG2LA+9], src0_sel:WORD_1 // 
v_pack_b32_f16 v[vgprG2LA+9], v[vgprG2Lpipe0], v[vgprG2Lpipe1], op_sel:[1,1,0] // 
v_cvt_f32_f16 v[vgprG2Lpipe0], v[vgprG2LA+10]      // 
v_cvt_f32_f16 v[vgprG2Lpipe1], v[vgprG2LA+10], src0_sel:WORD_1 // 
v_pack_b32_f16 v[vgprG2LA+10], v[vgprG2Lpipe0], v[vgprG2Lpipe1], op_sel:[1,1,0] // 
v_cvt_f32_f16 v[vgprG2Lpipe0], v[vgprG2LA+11]      // 
v_cvt_f32_f16 v[vgprG2Lpipe1], v[vgprG2LA+11], src0_sel:WORD_1 // 
v_pack_b32_f16 v[vgprG2LA+11], v[vgprG2Lpipe0], v[vgprG2Lpipe1], op_sel:[1,1,0] // 
_ds_store_b128 v[vgprLocalWriteAddrA], v[vgprG2LA+8:vgprG2LA+8+3] offset:8192 // lwoA_0_0_2_0 = (0*LSCA) + (2*LSPA)(*MT0I+PAD) = 8192
v_cvt_f32_f16 v[vgprG2Lpipe0], v[vgprG2LA+12]      // 
v_cvt_f32_f16 v[vgprG2Lpipe1], v[vgprG2LA+12], src0_sel:WORD_1 // 
v_pack_b32_f16 v[vgprG2LA+12], v[vgprG2Lpipe0], v[vgprG2Lpipe1], op_sel:[1,1,0] // 
v_cvt_f32_f16 v[vgprG2Lpipe0], v[vgprG2LA+13]      // 
v_cvt_f32_f16 v[vgprG2Lpipe1], v[vgprG2LA+13], src0_sel:WORD_1 // 
v_pack_b32_f16 v[vgprG2LA+13], v[vgprG2Lpipe0], v[vgprG2Lpipe1], op_sel:[1,1,0] // 
	;; [unrolled: 3-line block ×4, first 2 shown]
_ds_store_b128 v[vgprLocalWriteAddrA], v[vgprG2LA+12:vgprG2LA+12+3] offset:12288 // lwoA_0_0_3_0 = (0*LSCA) + (3*LSPA)(*MT0I+PAD) = 12288

/* local write b */
v_cvt_f32_f16 v[vgprG2Lpipe0], v[vgprG2LB+0]       // 
v_cvt_f32_f16 v[vgprG2Lpipe1], v[vgprG2LB+0], src0_sel:WORD_1 // 
v_pack_b32_f16 v[vgprG2LB+0], v[vgprG2Lpipe0], v[vgprG2Lpipe1], op_sel:[1,1,0] // 
v_cvt_f32_f16 v[vgprG2Lpipe0], v[vgprG2LB+1]       // 
v_cvt_f32_f16 v[vgprG2Lpipe1], v[vgprG2LB+1], src0_sel:WORD_1 // 
v_pack_b32_f16 v[vgprG2LB+1], v[vgprG2Lpipe0], v[vgprG2Lpipe1], op_sel:[1,1,0] // 
	;; [unrolled: 3-line block ×4, first 2 shown]
_ds_store_b128 v[vgprLocalWriteAddrB], v[vgprG2LB+0:vgprG2LB+0+3] offset:0 // lwoB_0_0_0_0 = (0*LSCB)*(MT1J+PAD) + (0*LSPB) = 0


/* local write swap a */


	;; [unrolled: 1-line block ×3, first 2 shown]
/* local write swap b */


	;; [unrolled: 1-line block ×4, first 2 shown]
s_cmp_eq_u32 s[sgprLoopCounterL] 0x1               // PGR=2 but only 1 loop
s_cbranch_scc1 label_0012                          // PGR=2 but only 1 loop


_buffer_load_b128 v[vgprG2LA+0:vgprG2LA+0+3], v[vgprGlobalReadOffsetA+0], s[sgprSrdA:sgprSrdA+3], 0, offen offset:0 // G -> Reg 0_0_0_0
_buffer_load_b128 v[vgprG2LA+4:vgprG2LA+4+3], v[vgprGlobalReadOffsetA+1], s[sgprSrdA:sgprSrdA+3], 0, offen offset:0 // G -> Reg 0_0_1_0
_buffer_load_b128 v[vgprG2LA+8:vgprG2LA+8+3], v[vgprGlobalReadOffsetA+2], s[sgprSrdA:sgprSrdA+3], 0, offen offset:0 // G -> Reg 0_0_2_0
_buffer_load_b128 v[vgprG2LA+12:vgprG2LA+12+3], v[vgprGlobalReadOffsetA+3], s[sgprSrdA:sgprSrdA+3], 0, offen offset:0 // G -> Reg 0_0_3_0


_buffer_load_b128 v[vgprG2LB+0:vgprG2LB+0+3], v[vgprGlobalReadOffsetB+0], s[sgprSrdB:sgprSrdB+3], 0, offen offset:0 // G -> Reg 0_0_0_0

label_0012:                                        // 

s_waitcnt lgkmcnt(0)                               // lgkmcnt=0 vmcnt=-10prefetch wait for local write

// Skip force waitcnt0
s_barrier //


/* local read prefetch a */

_ds_load_u16 v[vgprValuA_X0_I0+0], v[vgprLocalReadAddrA] offset:0 // L -> Reg lro=0 swapByteOffset=0 ti=256 vIdx=0 rIdx=0 oIdx=0 buffer=0 iui=0
_ds_load_u16_d16_hi v129, v[vgprLocalReadAddrA] offset:512 // L -> Reg lro=0 swapByteOffset=0 ti=256 vIdx=0 rIdx=1 oIdx=0 buffer=0 iui=0
_ds_load_u16 v[vgprValuA_X0_I0+1], v[vgprLocalReadAddrA] offset:1024 // L -> Reg lro=0 swapByteOffset=0 ti=256 vIdx=0 rIdx=2 oIdx=0 buffer=0 iui=0
_ds_load_u16_d16_hi v130, v[vgprLocalReadAddrA] offset:1536 // L -> Reg lro=0 swapByteOffset=0 ti=256 vIdx=0 rIdx=3 oIdx=0 buffer=0 iui=0
_ds_load_u16 v[vgprValuA_X0_I0+2], v[vgprLocalReadAddrA] offset:2 // L -> Reg lro=0 swapByteOffset=0 ti=256 vIdx=0 rIdx=0 oIdx=0 buffer=0 iui=0
_ds_load_u16_d16_hi v131, v[vgprLocalReadAddrA] offset:514 // L -> Reg lro=0 swapByteOffset=0 ti=256 vIdx=0 rIdx=1 oIdx=0 buffer=0 iui=0
_ds_load_u16 v[vgprValuA_X0_I0+3], v[vgprLocalReadAddrA] offset:1026 // L -> Reg lro=0 swapByteOffset=0 ti=256 vIdx=0 rIdx=2 oIdx=0 buffer=0 iui=0
_ds_load_u16_d16_hi v132, v[vgprLocalReadAddrA] offset:1538 // L -> Reg lro=0 swapByteOffset=0 ti=256 vIdx=0 rIdx=3 oIdx=0 buffer=0 iui=0


/* local read prefetch b */

_ds_load_b64 v[vgprValuB_X0_I0+0:vgprValuB_X0_I0+0+1], v[vgprLocalReadAddrB] offset:0 // L -> Reg lro=0 swapByteOffset=0 ti=64 vIdx=0 rIdx=0 oIdx=0 buffer=0 iui=0
_ds_load_b64 v[vgprValuB_X0_I0+2:vgprValuB_X0_I0+2+1], v[vgprLocalReadAddrB] offset:64 // L -> Reg lro=0 swapByteOffset=0 ti=64 vIdx=0 rIdx=0 oIdx=0 buffer=0 iui=0


/* local read inc a */

/* N/A, lro->2048 */
/* self.localReadDoCntA 1 self.localReadDoCntB 1 */


/* local read inc b */

/* N/A, lro->8 */
/* self.localReadDoCntA 1 self.localReadDoCntB 1 */


	;; [unrolled: 1-line block ×3, first 2 shown]
/******************************************/
/* Unrolled Loop(s) - Begin               */
/******************************************/

openLoopL_13:
s_cmp_eq_u32 s[sgprLoopCounterL], 0x1              // LoopCounterL < EndCounter
s_cbranch_scc1 label_0014                          // PGR=2 but only 1 loop, toPGR1
s_cmp_le_u32 s[sgprLoopCounterL], 0x2              // LoopCounterL < EndCounter
s_cbranch_scc1 LoopEndL_2                          // do not enter LoopL
LoopBeginL_1:


/******************************************/
/* Unrolled Loop 1/1 - Begin              */
/******************************************/

label_0015: // LoopCopy1 


/* Begin Each Unroll: Check VGPR.checkin for INT8 LW */



/* iter 0 */

/*  grEndMfmaIndex:2, lwStartMfmaIndex:11, lwEndMfmaIndex:11  */
/*  numMfmaForLR:2, barrierMfmaIndex:13, LocalWritePerMfma:5.000 */
/*  mfmaIndex:0  */
s_waitcnt lgkmcnt(0)                               // lgkmcnt=0 vmcnt=-1wait for prior local read local write old=0, new=0 newLW=0 newLR=0
/* pack scheduling: packAIdx:2, packBIdx:0 */
v_or_b32 v[vgprValuA_X0_I0+0], v[vgprValuA_X0_I0+0], v129 // pack two half Vgpr to one Vgpr
v_or_b32 v[vgprValuA_X0_I0+1], v[vgprValuA_X0_I0+1], v130 // pack two half Vgpr to one Vgpr
	;; [unrolled: 1-line block ×4, first 2 shown]
v_mfma_f32_32x32x8bf16_1k v[0+0:15+0], v[vgprValuB_X0_I0+0+0+0:vgprValuB_X0_I0+0+0+0+1], v[vgprValuA_X0_I0+0+0+0:vgprValuA_X0_I0+0+0+0+1], v[0:15]
/*  mfmaIndex:1  */
_ds_load_u16 v[vgprValuA_X1_I0+0], v[vgprLocalReadAddrA] offset:4096 // L -> Reg lro=2048 swapByteOffset=0 ti=256 vIdx=0 rIdx=0 oIdx=0 buffer=1 iui=0
_ds_load_u16_d16_hi v133, v[vgprLocalReadAddrA] offset:4608 // L -> Reg lro=2048 swapByteOffset=0 ti=256 vIdx=0 rIdx=1 oIdx=0 buffer=1 iui=0
_ds_load_u16 v[vgprValuA_X1_I0+1], v[vgprLocalReadAddrA] offset:5120 // L -> Reg lro=2048 swapByteOffset=0 ti=256 vIdx=0 rIdx=2 oIdx=0 buffer=1 iui=0
_ds_load_u16_d16_hi v134, v[vgprLocalReadAddrA] offset:5632 // L -> Reg lro=2048 swapByteOffset=0 ti=256 vIdx=0 rIdx=3 oIdx=0 buffer=1 iui=0
_ds_load_b64 v[vgprValuB_X1_I0+0:vgprValuB_X1_I0+0+1], v[vgprLocalReadAddrB] offset:16 // L -> Reg lro=8 swapByteOffset=0 ti=64 vIdx=0 rIdx=0 oIdx=0 buffer=1 iui=0
_ds_load_u16 v[vgprValuA_X1_I0+2], v[vgprLocalReadAddrA] offset:4098 // L -> Reg lro=2048 swapByteOffset=0 ti=256 vIdx=0 rIdx=0 oIdx=0 buffer=1 iui=0

/* global read inc A loopL */
s_add_u32 s[sgprSrdA+0], s[sgprSrdA+0], s[sgprGlobalReadIncsA+0] // gra SRD += inc(lower)
s_addc_u32  s[sgprSrdA+1], s[sgprSrdA+1], 0        // gra SRD += inc(upper)
s_sub_u32 s[sgprShadowLimitA+0], s[sgprShadowLimitA+0], s[sgprGlobalReadIncsA+0] // limit -= inc)
s_subb_u32 s[sgprShadowLimitA+1], s[sgprShadowLimitA+1], 0 // limit -= inc)
s_cmp_eq_u32 s[sgprShadowLimitA+1], 0              // are we within 2^32?
s_cmov_b32 s[sgprSrdA+2], s[sgprShadowLimitA+0]    // Move shadow to real if we are within 2^32

/* global read inc B loopL */
s_add_u32 s[sgprSrdB+0], s[sgprSrdB+0], s[sgprGlobalReadIncsB+0] // gra SRD += inc(lower)
v_mfma_f32_32x32x8bf16_1k v[16+0:31+0], v[vgprValuB_X0_I0+0+0+0:vgprValuB_X0_I0+0+0+0+1], v[vgprValuA_X0_I0+2+0+0:vgprValuA_X0_I0+2+0+0+1], v[16:31]
/*  mfmaIndex:2  */
_ds_load_u16_d16_hi v135, v[vgprLocalReadAddrA] offset:4610 // L -> Reg lro=2048 swapByteOffset=0 ti=256 vIdx=0 rIdx=1 oIdx=0 buffer=1 iui=0
_ds_load_u16 v[vgprValuA_X1_I0+3], v[vgprLocalReadAddrA] offset:5122 // L -> Reg lro=2048 swapByteOffset=0 ti=256 vIdx=0 rIdx=2 oIdx=0 buffer=1 iui=0
_ds_load_u16_d16_hi v136, v[vgprLocalReadAddrA] offset:5634 // L -> Reg lro=2048 swapByteOffset=0 ti=256 vIdx=0 rIdx=3 oIdx=0 buffer=1 iui=0
_ds_load_b64 v[vgprValuB_X1_I0+2:vgprValuB_X1_I0+2+1], v[vgprLocalReadAddrB] offset:80 // L -> Reg lro=8 swapByteOffset=0 ti=64 vIdx=0 rIdx=0 oIdx=0 buffer=1 iui=0
/* localReadsVacancy: latencyLeft 5 */
_ds_load_u16 v[vgprValuA_X2_I0+0], v[vgprLocalReadAddrA] offset:8192 // L -> Reg lro=4096 swapByteOffset=0 ti=256 vIdx=0 rIdx=0 oIdx=0 buffer=2 iui=0
_ds_load_u16 v[vgprValuA_X2_I0+1], v[vgprLocalReadAddrA] offset:9216 // L -> Reg lro=4096 swapByteOffset=0 ti=256 vIdx=0 rIdx=2 oIdx=0 buffer=2 iui=0
s_addc_u32  s[sgprSrdB+1], s[sgprSrdB+1], 0        // gra SRD += inc(upper)
s_sub_u32 s[sgprShadowLimitB+0], s[sgprShadowLimitB+0], s[sgprGlobalReadIncsB+0] // limit -= inc)
s_subb_u32 s[sgprShadowLimitB+1], s[sgprShadowLimitB+1], 0 // limit -= inc)
s_cmp_eq_u32 s[sgprShadowLimitB+1], 0              // are we within 2^32?
s_cmov_b32 s[sgprSrdB+2], s[sgprShadowLimitB+0]    // Move shadow to real if we are within 2^32
v_mfma_f32_32x32x8bf16_1k v[48+0:63+0], v[vgprValuB_X0_I0+2+0+0:vgprValuB_X0_I0+2+0+0+1], v[vgprValuA_X0_I0+2+0+0:vgprValuA_X0_I0+2+0+0+1], v[48:63]
/*  mfmaIndex:3  */
/* localReadsVacancy: latencyLeft 13 */
_ds_load_b64 v[vgprValuB_X2_I0+0:vgprValuB_X2_I0+0+1], v[vgprLocalReadAddrB] offset:32 // L -> Reg lro=16 swapByteOffset=0 ti=64 vIdx=0 rIdx=0 oIdx=0 buffer=2 iui=0
_ds_load_u16 v[vgprValuA_X2_I0+2], v[vgprLocalReadAddrA] offset:8194 // L -> Reg lro=4096 swapByteOffset=0 ti=256 vIdx=0 rIdx=0 oIdx=0 buffer=2 iui=0
_ds_load_u16 v[vgprValuA_X2_I0+3], v[vgprLocalReadAddrA] offset:9218 // L -> Reg lro=4096 swapByteOffset=0 ti=256 vIdx=0 rIdx=2 oIdx=0 buffer=2 iui=0
_ds_load_b64 v[vgprValuB_X2_I0+2:vgprValuB_X2_I0+2+1], v[vgprLocalReadAddrB] offset:96 // L -> Reg lro=16 swapByteOffset=0 ti=64 vIdx=0 rIdx=0 oIdx=0 buffer=2 iui=0
_ds_load_u16 v[vgprValuA_X3_I0+0], v[vgprLocalReadAddrA] offset:12288 // L -> Reg lro=6144 swapByteOffset=0 ti=256 vIdx=0 rIdx=0 oIdx=0 buffer=3 iui=0
_ds_load_u16 v[vgprValuA_X3_I0+1], v[vgprLocalReadAddrA] offset:13312 // L -> Reg lro=6144 swapByteOffset=0 ti=256 vIdx=0 rIdx=2 oIdx=0 buffer=3 iui=0
v_mfma_f32_32x32x8bf16_1k v[32+0:47+0], v[vgprValuB_X0_I0+2+0+0:vgprValuB_X0_I0+2+0+0+1], v[vgprValuA_X0_I0+0+0+0:vgprValuA_X0_I0+0+0+0+1], v[32:47]
/* numPrefetchIter=0 */
/* dataAtIterA=-1 numReadsIterA=1 skipReadsIterA=1 readsPerIterA=8 */
/* dataAtIterB=-1 numReadsIterB=1 skipReadsIterB=1 readsPerIterB=2 */


/* iter 1 */

/*  grEndMfmaIndex:2, lwStartMfmaIndex:11, lwEndMfmaIndex:11  */
/*  numMfmaForLR:2, barrierMfmaIndex:13, LocalWritePerMfma:5.000 */
/*  mfmaIndex:4  */
_ds_load_u16_d16_hi v129, v[vgprLocalReadAddrA] offset:8704 // L -> Reg lro=4096 swapByteOffset=0 ti=256 vIdx=0 rIdx=1 oIdx=0 buffer=2 iui=0
_ds_load_u16_d16_hi v130, v[vgprLocalReadAddrA] offset:9728 // L -> Reg lro=4096 swapByteOffset=0 ti=256 vIdx=0 rIdx=3 oIdx=0 buffer=2 iui=0
	;; [unrolled: 1-line block ×4, first 2 shown]
/* localReadsVacancy: latencyLeft 5 */
_ds_load_b64 v[vgprValuB_X3_I0+0:vgprValuB_X3_I0+0+1], v[vgprLocalReadAddrB] offset:48 // L -> Reg lro=24 swapByteOffset=0 ti=64 vIdx=0 rIdx=0 oIdx=0 buffer=3 iui=0
_ds_load_u16 v[vgprValuA_X3_I0+2], v[vgprLocalReadAddrA] offset:12290 // L -> Reg lro=6144 swapByteOffset=0 ti=256 vIdx=0 rIdx=0 oIdx=0 buffer=3 iui=0
s_waitcnt lgkmcnt(14)                              // lgkmcnt=0 vmcnt=-1wait for prior local read local write old=6, new=10 newLW=0 newLR=4
/* pack scheduling: packAIdx:2, packBIdx:0 */
v_or_b32 v[vgprValuA_X1_I0+0], v[vgprValuA_X1_I0+0], v133 // pack two half Vgpr to one Vgpr
v_or_b32 v[vgprValuA_X1_I0+1], v[vgprValuA_X1_I0+1], v134 // pack two half Vgpr to one Vgpr
	;; [unrolled: 1-line block ×4, first 2 shown]
v_mfma_f32_32x32x8bf16_1k v[0+0:15+0], v[vgprValuB_X1_I0+0+0+0:vgprValuB_X1_I0+0+0+0+1], v[vgprValuA_X1_I0+0+0+0:vgprValuA_X1_I0+0+0+0+1], v[0:15]
/*  mfmaIndex:5  */
/* localReadsVacancy: latencyLeft 13 */
_ds_load_u16 v[vgprValuA_X3_I0+3], v[vgprLocalReadAddrA] offset:13314 // L -> Reg lro=6144 swapByteOffset=0 ti=256 vIdx=0 rIdx=2 oIdx=0 buffer=3 iui=0
_ds_load_b64 v[vgprValuB_X3_I0+2:vgprValuB_X3_I0+2+1], v[vgprLocalReadAddrB] offset:112 // L -> Reg lro=24 swapByteOffset=0 ti=64 vIdx=0 rIdx=0 oIdx=0 buffer=3 iui=0
v_mfma_f32_32x32x8bf16_1k v[16+0:31+0], v[vgprValuB_X1_I0+0+0+0:vgprValuB_X1_I0+0+0+0+1], v[vgprValuA_X1_I0+2+0+0:vgprValuA_X1_I0+2+0+0+1], v[16:31]
/*  mfmaIndex:6  */
/* localReadsVacancy: latencyLeft 13 */
v_mfma_f32_32x32x8bf16_1k v[48+0:63+0], v[vgprValuB_X1_I0+2+0+0:vgprValuB_X1_I0+2+0+0+1], v[vgprValuA_X1_I0+2+0+0:vgprValuA_X1_I0+2+0+0+1], v[48:63]
/*  mfmaIndex:7  */
/* localReadsVacancy: latencyLeft 13 */
v_mfma_f32_32x32x8bf16_1k v[32+0:47+0], v[vgprValuB_X1_I0+2+0+0:vgprValuB_X1_I0+2+0+0+1], v[vgprValuA_X1_I0+0+0+0:vgprValuA_X1_I0+0+0+0+1], v[32:47]
/* numPrefetchIter=0 */
/* dataAtIterA=0 numReadsIterA=2 skipReadsIterA=1 readsPerIterA=8 */
/* dataAtIterB=0 numReadsIterB=2 skipReadsIterB=1 readsPerIterB=2 */


/* iter 2 (reset local read pointers iteration)  (swap and reset local write pointers iteration)  (swap local read pointers iteration)  */

/*  grEndMfmaIndex:2, lwStartMfmaIndex:11, lwEndMfmaIndex:11  */
/*  numMfmaForLR:2, barrierMfmaIndex:13, LocalWritePerMfma:5.000 */
/*  mfmaIndex:8  */
_ds_load_u16_d16_hi v133, v[vgprLocalReadAddrA] offset:12800 // L -> Reg lro=6144 swapByteOffset=0 ti=256 vIdx=0 rIdx=1 oIdx=0 buffer=3 iui=0
_ds_load_u16_d16_hi v134, v[vgprLocalReadAddrA] offset:13824 // L -> Reg lro=6144 swapByteOffset=0 ti=256 vIdx=0 rIdx=3 oIdx=0 buffer=3 iui=0
	;; [unrolled: 1-line block ×4, first 2 shown]
/* localReadsVacancy: latencyLeft 5 */
s_waitcnt lgkmcnt(8)                               // lgkmcnt=0 vmcnt=-1wait for prior local read local write old=4, new=8 newLW=0 newLR=4
/* pack scheduling: packAIdx:2, packBIdx:0 */
v_or_b32 v[vgprValuA_X2_I0+0], v[vgprValuA_X2_I0+0], v129 // pack two half Vgpr to one Vgpr
v_or_b32 v[vgprValuA_X2_I0+1], v[vgprValuA_X2_I0+1], v130 // pack two half Vgpr to one Vgpr
	;; [unrolled: 1-line block ×4, first 2 shown]
v_mfma_f32_32x32x8bf16_1k v[0+0:15+0], v[vgprValuB_X2_I0+0+0+0:vgprValuB_X2_I0+0+0+0+1], v[vgprValuA_X2_I0+0+0+0:vgprValuA_X2_I0+0+0+0+1], v[0:15]
/*  mfmaIndex:9  */
/* localReadsVacancy: latencyLeft 13 */
v_mfma_f32_32x32x8bf16_1k v[16+0:31+0], v[vgprValuB_X2_I0+0+0+0:vgprValuB_X2_I0+0+0+0+1], v[vgprValuA_X2_I0+2+0+0:vgprValuA_X2_I0+2+0+0+1], v[16:31]
/*  mfmaIndex:10  */
/* localReadsVacancy: latencyLeft 13 */
/* 1 LDS buffer: read-sync-write */
s_waitcnt lgkmcnt(0)                               // 
s_barrier                                          // 
v_mfma_f32_32x32x8bf16_1k v[48+0:63+0], v[vgprValuB_X2_I0+2+0+0:vgprValuB_X2_I0+2+0+0+1], v[vgprValuA_X2_I0+2+0+0:vgprValuA_X2_I0+2+0+0+1], v[48:63]
/*  mfmaIndex:11  */
/* sched write - iter 2 writesPerItem=1 */
s_waitcnt vmcnt(0)                                 // lgkmcnt=-1 vmcnt=0wait for global read before writing to local
v_cvt_f32_f16 v[vgprG2Lpipe0], v[vgprG2LA+0]       // 
v_cvt_f32_f16 v[vgprG2Lpipe1], v[vgprG2LA+0], src0_sel:WORD_1 // 
v_pack_b32_f16 v[vgprG2LA+0], v[vgprG2Lpipe0], v[vgprG2Lpipe1], op_sel:[1,1,0] // 
v_cvt_f32_f16 v[vgprG2Lpipe0], v[vgprG2LA+1]       // 
v_cvt_f32_f16 v[vgprG2Lpipe1], v[vgprG2LA+1], src0_sel:WORD_1 // 
v_pack_b32_f16 v[vgprG2LA+1], v[vgprG2Lpipe0], v[vgprG2Lpipe1], op_sel:[1,1,0] // 
	;; [unrolled: 3-line block ×4, first 2 shown]
_ds_store_b128 v[vgprLocalWriteAddrA], v[vgprG2LA+0:vgprG2LA+0+3] offset:0 // lwoA_0_0_0_0 = (0*LSCA) + (0*LSPA)(*MT0I+PAD) = 0
_buffer_load_b128 v[vgprG2LA+0:vgprG2LA+0+3], v[vgprGlobalReadOffsetA+0], s[sgprSrdA:sgprSrdA+3], 0, offen offset:0 // G -> Reg 0_0_0_0
/* sched write - iter 2 writesPerItem=1 */
s_waitcnt vmcnt(0)                                 // lgkmcnt=-1 vmcnt=0wait for global read before writing to local
v_cvt_f32_f16 v[vgprG2Lpipe0], v[vgprG2LA+4]       // 
v_cvt_f32_f16 v[vgprG2Lpipe1], v[vgprG2LA+4], src0_sel:WORD_1 // 
v_pack_b32_f16 v[vgprG2LA+4], v[vgprG2Lpipe0], v[vgprG2Lpipe1], op_sel:[1,1,0] // 
v_cvt_f32_f16 v[vgprG2Lpipe0], v[vgprG2LA+5]       // 
v_cvt_f32_f16 v[vgprG2Lpipe1], v[vgprG2LA+5], src0_sel:WORD_1 // 
v_pack_b32_f16 v[vgprG2LA+5], v[vgprG2Lpipe0], v[vgprG2Lpipe1], op_sel:[1,1,0] // 
	;; [unrolled: 3-line block ×4, first 2 shown]
_ds_store_b128 v[vgprLocalWriteAddrA], v[vgprG2LA+4:vgprG2LA+4+3] offset:4096 // lwoA_0_0_1_0 = (0*LSCA) + (1*LSPA)(*MT0I+PAD) = 4096
_buffer_load_b128 v[vgprG2LA+4:vgprG2LA+4+3], v[vgprGlobalReadOffsetA+1], s[sgprSrdA:sgprSrdA+3], 0, offen offset:0 // G -> Reg 0_0_1_0
/* sched write - iter 2 writesPerItem=1 */
s_waitcnt vmcnt(0)                                 // lgkmcnt=-1 vmcnt=0wait for global read before writing to local
v_cvt_f32_f16 v[vgprG2Lpipe0], v[vgprG2LA+8]       // 
v_cvt_f32_f16 v[vgprG2Lpipe1], v[vgprG2LA+8], src0_sel:WORD_1 // 
v_pack_b32_f16 v[vgprG2LA+8], v[vgprG2Lpipe0], v[vgprG2Lpipe1], op_sel:[1,1,0] // 
v_cvt_f32_f16 v[vgprG2Lpipe0], v[vgprG2LA+9]       // 
v_cvt_f32_f16 v[vgprG2Lpipe1], v[vgprG2LA+9], src0_sel:WORD_1 // 
v_pack_b32_f16 v[vgprG2LA+9], v[vgprG2Lpipe0], v[vgprG2Lpipe1], op_sel:[1,1,0] // 
v_cvt_f32_f16 v[vgprG2Lpipe0], v[vgprG2LA+10]      // 
v_cvt_f32_f16 v[vgprG2Lpipe1], v[vgprG2LA+10], src0_sel:WORD_1 // 
v_pack_b32_f16 v[vgprG2LA+10], v[vgprG2Lpipe0], v[vgprG2Lpipe1], op_sel:[1,1,0] // 
v_cvt_f32_f16 v[vgprG2Lpipe0], v[vgprG2LA+11]      // 
v_cvt_f32_f16 v[vgprG2Lpipe1], v[vgprG2LA+11], src0_sel:WORD_1 // 
v_pack_b32_f16 v[vgprG2LA+11], v[vgprG2Lpipe0], v[vgprG2Lpipe1], op_sel:[1,1,0] // 
_ds_store_b128 v[vgprLocalWriteAddrA], v[vgprG2LA+8:vgprG2LA+8+3] offset:8192 // lwoA_0_0_2_0 = (0*LSCA) + (2*LSPA)(*MT0I+PAD) = 8192
_buffer_load_b128 v[vgprG2LA+8:vgprG2LA+8+3], v[vgprGlobalReadOffsetA+2], s[sgprSrdA:sgprSrdA+3], 0, offen offset:0 // G -> Reg 0_0_2_0
/* sched write - iter 2 writesPerItem=1 */
s_waitcnt vmcnt(0)                                 // lgkmcnt=-1 vmcnt=0wait for global read before writing to local
v_cvt_f32_f16 v[vgprG2Lpipe0], v[vgprG2LA+12]      // 
v_cvt_f32_f16 v[vgprG2Lpipe1], v[vgprG2LA+12], src0_sel:WORD_1 // 
v_pack_b32_f16 v[vgprG2LA+12], v[vgprG2Lpipe0], v[vgprG2Lpipe1], op_sel:[1,1,0] // 
v_cvt_f32_f16 v[vgprG2Lpipe0], v[vgprG2LA+13]      // 
v_cvt_f32_f16 v[vgprG2Lpipe1], v[vgprG2LA+13], src0_sel:WORD_1 // 
v_pack_b32_f16 v[vgprG2LA+13], v[vgprG2Lpipe0], v[vgprG2Lpipe1], op_sel:[1,1,0] // 
	;; [unrolled: 3-line block ×4, first 2 shown]
_ds_store_b128 v[vgprLocalWriteAddrA], v[vgprG2LA+12:vgprG2LA+12+3] offset:12288 // lwoA_0_0_3_0 = (0*LSCA) + (3*LSPA)(*MT0I+PAD) = 12288
_buffer_load_b128 v[vgprG2LA+12:vgprG2LA+12+3], v[vgprGlobalReadOffsetA+3], s[sgprSrdA:sgprSrdA+3], 0, offen offset:0 // G -> Reg 0_0_3_0
/* sched write - iter 2 writesPerItem=1 */
s_waitcnt vmcnt(0)                                 // lgkmcnt=-1 vmcnt=0wait for global read before writing to local
v_cvt_f32_f16 v[vgprG2Lpipe0], v[vgprG2LB+0]       // 
v_cvt_f32_f16 v[vgprG2Lpipe1], v[vgprG2LB+0], src0_sel:WORD_1 // 
v_pack_b32_f16 v[vgprG2LB+0], v[vgprG2Lpipe0], v[vgprG2Lpipe1], op_sel:[1,1,0] // 
v_cvt_f32_f16 v[vgprG2Lpipe0], v[vgprG2LB+1]       // 
v_cvt_f32_f16 v[vgprG2Lpipe1], v[vgprG2LB+1], src0_sel:WORD_1 // 
v_pack_b32_f16 v[vgprG2LB+1], v[vgprG2Lpipe0], v[vgprG2Lpipe1], op_sel:[1,1,0] // 
	;; [unrolled: 3-line block ×4, first 2 shown]
_ds_store_b128 v[vgprLocalWriteAddrB], v[vgprG2LB+0:vgprG2LB+0+3] offset:0 // lwoB_0_0_0_0 = (0*LSCB)*(MT1J+PAD) + (0*LSPB) = 0
_buffer_load_b128 v[vgprG2LB+0:vgprG2LB+0+3], v[vgprGlobalReadOffsetB+0], s[sgprSrdB:sgprSrdB+3], 0, offen offset:0 // G -> Reg 0_0_0_0

/* local write swap offsets a */

/* local write swap offsets b */

/* local read swap offsets a */

/* local read swap offsets b */

/* local read init pointers a */

/* localReadInitPointers */

/* local read init pointers b */

/* localReadInitPointers */
v_mfma_f32_32x32x8bf16_1k v[32+0:47+0], v[vgprValuB_X2_I0+2+0+0:vgprValuB_X2_I0+2+0+0+1], v[vgprValuA_X2_I0+0+0+0:vgprValuA_X2_I0+0+0+0+1], v[32:47]
/* numPrefetchIter=0 */
/* dataAtIterA=1 numReadsIterA=3 skipReadsIterA=1 readsPerIterA=8 */
/* dataAtIterB=1 numReadsIterB=3 skipReadsIterB=1 readsPerIterB=2 */


/* iter 3 */

/*  grEndMfmaIndex:2, lwStartMfmaIndex:11, lwEndMfmaIndex:11  */
/*  numMfmaForLR:2, barrierMfmaIndex:13, LocalWritePerMfma:5.000 */
/*  mfmaIndex:12  */
/* pack scheduling: packAIdx:2, packBIdx:0 */
v_or_b32 v[vgprValuA_X3_I0+0], v[vgprValuA_X3_I0+0], v133 // pack two half Vgpr to one Vgpr
v_or_b32 v[vgprValuA_X3_I0+1], v[vgprValuA_X3_I0+1], v134 // pack two half Vgpr to one Vgpr
	;; [unrolled: 1-line block ×4, first 2 shown]
v_mfma_f32_32x32x8bf16_1k v[0+0:15+0], v[vgprValuB_X3_I0+0+0+0:vgprValuB_X3_I0+0+0+0+1], v[vgprValuA_X3_I0+0+0+0:vgprValuA_X3_I0+0+0+0+1], v[0:15]
/*  mfmaIndex:13  */
s_waitcnt lgkmcnt(0)                               // lgkmcnt=0 vmcnt=-13wait for local write
// Skip force waitcnt0
s_barrier //
v_mfma_f32_32x32x8bf16_1k v[16+0:31+0], v[vgprValuB_X3_I0+0+0+0:vgprValuB_X3_I0+0+0+0+1], v[vgprValuA_X3_I0+2+0+0:vgprValuA_X3_I0+2+0+0+1], v[16:31]
/*  mfmaIndex:14  */
_ds_load_u16 v[vgprValuA_X0_I0+0], v[vgprLocalReadAddrA] offset:0 // L -> Reg lro=0 swapByteOffset=0 ti=256 vIdx=0 rIdx=0 oIdx=0 buffer=0 iui=0
_ds_load_u16_d16_hi v129, v[vgprLocalReadAddrA] offset:512 // L -> Reg lro=0 swapByteOffset=0 ti=256 vIdx=0 rIdx=1 oIdx=0 buffer=0 iui=0
_ds_load_u16 v[vgprValuA_X0_I0+1], v[vgprLocalReadAddrA] offset:1024 // L -> Reg lro=0 swapByteOffset=0 ti=256 vIdx=0 rIdx=2 oIdx=0 buffer=0 iui=0
_ds_load_u16_d16_hi v130, v[vgprLocalReadAddrA] offset:1536 // L -> Reg lro=0 swapByteOffset=0 ti=256 vIdx=0 rIdx=3 oIdx=0 buffer=0 iui=0
_ds_load_b64 v[vgprValuB_X0_I0+0:vgprValuB_X0_I0+0+1], v[vgprLocalReadAddrB] offset:0 // L -> Reg lro=0 swapByteOffset=0 ti=64 vIdx=0 rIdx=0 oIdx=0 buffer=0 iui=0
_ds_load_u16 v[vgprValuA_X0_I0+2], v[vgprLocalReadAddrA] offset:2 // L -> Reg lro=0 swapByteOffset=0 ti=256 vIdx=0 rIdx=0 oIdx=0 buffer=0 iui=0
v_mfma_f32_32x32x8bf16_1k v[48+0:63+0], v[vgprValuB_X3_I0+2+0+0:vgprValuB_X3_I0+2+0+0+1], v[vgprValuA_X3_I0+2+0+0:vgprValuA_X3_I0+2+0+0+1], v[48:63]
/*  mfmaIndex:15  */
_ds_load_u16_d16_hi v131, v[vgprLocalReadAddrA] offset:514 // L -> Reg lro=0 swapByteOffset=0 ti=256 vIdx=0 rIdx=1 oIdx=0 buffer=0 iui=0
_ds_load_u16 v[vgprValuA_X0_I0+3], v[vgprLocalReadAddrA] offset:1026 // L -> Reg lro=0 swapByteOffset=0 ti=256 vIdx=0 rIdx=2 oIdx=0 buffer=0 iui=0
_ds_load_u16_d16_hi v132, v[vgprLocalReadAddrA] offset:1538 // L -> Reg lro=0 swapByteOffset=0 ti=256 vIdx=0 rIdx=3 oIdx=0 buffer=0 iui=0
_ds_load_b64 v[vgprValuB_X0_I0+2:vgprValuB_X0_I0+2+1], v[vgprLocalReadAddrB] offset:64 // L -> Reg lro=0 swapByteOffset=0 ti=64 vIdx=0 rIdx=0 oIdx=0 buffer=0 iui=0
v_mfma_f32_32x32x8bf16_1k v[32+0:47+0], v[vgprValuB_X3_I0+2+0+0:vgprValuB_X3_I0+2+0+0+1], v[vgprValuA_X3_I0+0+0+0:vgprValuA_X3_I0+0+0+0+1], v[32:47]


/******************************************/
/* Unrolled Loop - End                    */
/******************************************/


/* closeLoop loopL finalLoop=1 tailLoop=0 */
s_sub_u32 s[sgprLoopCounterL], s[sgprLoopCounterL], 1 // dec counterL
s_cmp_eq_i32 s[sgprLoopCounterL], 0x2              // counterL==2
s_cbranch_scc0 LoopBeginL_1                        // restart LoopL
LoopEndL_2:


/* Before NLL: Check VGPR.checkin for INT8 LW */


/******************************************/
/* Ord. NoGlobalLoadLoop - Begin                                      */
/******************************************/


	;; [unrolled: 1-line block ×3, first 2 shown]
/* iter 0 */

/*  grEndMfmaIndex:2, lwStartMfmaIndex:11, lwEndMfmaIndex:11  */
/*  numMfmaForLR:2, barrierMfmaIndex:13, LocalWritePerMfma:5.000 */
/*  mfmaIndex:0  */
s_waitcnt lgkmcnt(0)                               // lgkmcnt=0 vmcnt=-1wait for prior local read local write old=0, new=0 newLW=0 newLR=0
/* pack scheduling: packAIdx:2, packBIdx:0 */
v_or_b32 v[vgprValuA_X0_I0+0], v[vgprValuA_X0_I0+0], v129 // pack two half Vgpr to one Vgpr
v_or_b32 v[vgprValuA_X0_I0+1], v[vgprValuA_X0_I0+1], v130 // pack two half Vgpr to one Vgpr
v_or_b32 v[vgprValuA_X0_I0+2], v[vgprValuA_X0_I0+2], v131 // pack two half Vgpr to one Vgpr
v_or_b32 v[vgprValuA_X0_I0+3], v[vgprValuA_X0_I0+3], v132 // pack two half Vgpr to one Vgpr
v_mfma_f32_32x32x8bf16_1k v[0+0:15+0], v[vgprValuB_X0_I0+0+0+0:vgprValuB_X0_I0+0+0+0+1], v[vgprValuA_X0_I0+0+0+0:vgprValuA_X0_I0+0+0+0+1], v[0:15]
/*  mfmaIndex:1  */
_ds_load_u16 v[vgprValuA_X1_I0+0], v[vgprLocalReadAddrA] offset:4096 // L -> Reg lro=2048 swapByteOffset=0 ti=256 vIdx=0 rIdx=0 oIdx=0 buffer=1 iui=0
_ds_load_u16_d16_hi v133, v[vgprLocalReadAddrA] offset:4608 // L -> Reg lro=2048 swapByteOffset=0 ti=256 vIdx=0 rIdx=1 oIdx=0 buffer=1 iui=0
_ds_load_u16 v[vgprValuA_X1_I0+1], v[vgprLocalReadAddrA] offset:5120 // L -> Reg lro=2048 swapByteOffset=0 ti=256 vIdx=0 rIdx=2 oIdx=0 buffer=1 iui=0
_ds_load_u16_d16_hi v134, v[vgprLocalReadAddrA] offset:5632 // L -> Reg lro=2048 swapByteOffset=0 ti=256 vIdx=0 rIdx=3 oIdx=0 buffer=1 iui=0
_ds_load_b64 v[vgprValuB_X1_I0+0:vgprValuB_X1_I0+0+1], v[vgprLocalReadAddrB] offset:16 // L -> Reg lro=8 swapByteOffset=0 ti=64 vIdx=0 rIdx=0 oIdx=0 buffer=1 iui=0
_ds_load_u16 v[vgprValuA_X1_I0+2], v[vgprLocalReadAddrA] offset:4098 // L -> Reg lro=2048 swapByteOffset=0 ti=256 vIdx=0 rIdx=0 oIdx=0 buffer=1 iui=0

/* global read inc A loopL */
s_add_u32 s[sgprSrdA+0], s[sgprSrdA+0], s[sgprGlobalReadIncsA+0] // gra SRD += inc(lower)
s_addc_u32  s[sgprSrdA+1], s[sgprSrdA+1], 0        // gra SRD += inc(upper)
s_sub_u32 s[sgprShadowLimitA+0], s[sgprShadowLimitA+0], s[sgprGlobalReadIncsA+0] // limit -= inc)
s_subb_u32 s[sgprShadowLimitA+1], s[sgprShadowLimitA+1], 0 // limit -= inc)
s_cmp_eq_u32 s[sgprShadowLimitA+1], 0              // are we within 2^32?
s_cmov_b32 s[sgprSrdA+2], s[sgprShadowLimitA+0]    // Move shadow to real if we are within 2^32

/* global read inc B loopL */
s_add_u32 s[sgprSrdB+0], s[sgprSrdB+0], s[sgprGlobalReadIncsB+0] // gra SRD += inc(lower)
v_mfma_f32_32x32x8bf16_1k v[16+0:31+0], v[vgprValuB_X0_I0+0+0+0:vgprValuB_X0_I0+0+0+0+1], v[vgprValuA_X0_I0+2+0+0:vgprValuA_X0_I0+2+0+0+1], v[16:31]
/*  mfmaIndex:2  */
_ds_load_u16_d16_hi v135, v[vgprLocalReadAddrA] offset:4610 // L -> Reg lro=2048 swapByteOffset=0 ti=256 vIdx=0 rIdx=1 oIdx=0 buffer=1 iui=0
_ds_load_u16 v[vgprValuA_X1_I0+3], v[vgprLocalReadAddrA] offset:5122 // L -> Reg lro=2048 swapByteOffset=0 ti=256 vIdx=0 rIdx=2 oIdx=0 buffer=1 iui=0
_ds_load_u16_d16_hi v136, v[vgprLocalReadAddrA] offset:5634 // L -> Reg lro=2048 swapByteOffset=0 ti=256 vIdx=0 rIdx=3 oIdx=0 buffer=1 iui=0
_ds_load_b64 v[vgprValuB_X1_I0+2:vgprValuB_X1_I0+2+1], v[vgprLocalReadAddrB] offset:80 // L -> Reg lro=8 swapByteOffset=0 ti=64 vIdx=0 rIdx=0 oIdx=0 buffer=1 iui=0
/* localReadsVacancy: latencyLeft 5 */
_ds_load_u16 v[vgprValuA_X2_I0+0], v[vgprLocalReadAddrA] offset:8192 // L -> Reg lro=4096 swapByteOffset=0 ti=256 vIdx=0 rIdx=0 oIdx=0 buffer=2 iui=0
_ds_load_u16 v[vgprValuA_X2_I0+1], v[vgprLocalReadAddrA] offset:9216 // L -> Reg lro=4096 swapByteOffset=0 ti=256 vIdx=0 rIdx=2 oIdx=0 buffer=2 iui=0
s_addc_u32  s[sgprSrdB+1], s[sgprSrdB+1], 0        // gra SRD += inc(upper)
s_sub_u32 s[sgprShadowLimitB+0], s[sgprShadowLimitB+0], s[sgprGlobalReadIncsB+0] // limit -= inc)
s_subb_u32 s[sgprShadowLimitB+1], s[sgprShadowLimitB+1], 0 // limit -= inc)
s_cmp_eq_u32 s[sgprShadowLimitB+1], 0              // are we within 2^32?
s_cmov_b32 s[sgprSrdB+2], s[sgprShadowLimitB+0]    // Move shadow to real if we are within 2^32
v_mfma_f32_32x32x8bf16_1k v[48+0:63+0], v[vgprValuB_X0_I0+2+0+0:vgprValuB_X0_I0+2+0+0+1], v[vgprValuA_X0_I0+2+0+0:vgprValuA_X0_I0+2+0+0+1], v[48:63]
/*  mfmaIndex:3  */
/* localReadsVacancy: latencyLeft 13 */
_ds_load_b64 v[vgprValuB_X2_I0+0:vgprValuB_X2_I0+0+1], v[vgprLocalReadAddrB] offset:32 // L -> Reg lro=16 swapByteOffset=0 ti=64 vIdx=0 rIdx=0 oIdx=0 buffer=2 iui=0
_ds_load_u16 v[vgprValuA_X2_I0+2], v[vgprLocalReadAddrA] offset:8194 // L -> Reg lro=4096 swapByteOffset=0 ti=256 vIdx=0 rIdx=0 oIdx=0 buffer=2 iui=0
_ds_load_u16 v[vgprValuA_X2_I0+3], v[vgprLocalReadAddrA] offset:9218 // L -> Reg lro=4096 swapByteOffset=0 ti=256 vIdx=0 rIdx=2 oIdx=0 buffer=2 iui=0
_ds_load_b64 v[vgprValuB_X2_I0+2:vgprValuB_X2_I0+2+1], v[vgprLocalReadAddrB] offset:96 // L -> Reg lro=16 swapByteOffset=0 ti=64 vIdx=0 rIdx=0 oIdx=0 buffer=2 iui=0
_ds_load_u16 v[vgprValuA_X3_I0+0], v[vgprLocalReadAddrA] offset:12288 // L -> Reg lro=6144 swapByteOffset=0 ti=256 vIdx=0 rIdx=0 oIdx=0 buffer=3 iui=0
_ds_load_u16 v[vgprValuA_X3_I0+1], v[vgprLocalReadAddrA] offset:13312 // L -> Reg lro=6144 swapByteOffset=0 ti=256 vIdx=0 rIdx=2 oIdx=0 buffer=3 iui=0
v_mfma_f32_32x32x8bf16_1k v[32+0:47+0], v[vgprValuB_X0_I0+2+0+0:vgprValuB_X0_I0+2+0+0+1], v[vgprValuA_X0_I0+0+0+0:vgprValuA_X0_I0+0+0+0+1], v[32:47]
/* numPrefetchIter=0 */
/* dataAtIterA=-1 numReadsIterA=1 skipReadsIterA=1 readsPerIterA=8 */
/* dataAtIterB=-1 numReadsIterB=1 skipReadsIterB=1 readsPerIterB=2 */


/* iter 1 */

/*  grEndMfmaIndex:2, lwStartMfmaIndex:11, lwEndMfmaIndex:11  */
/*  numMfmaForLR:2, barrierMfmaIndex:13, LocalWritePerMfma:5.000 */
/*  mfmaIndex:4  */
_ds_load_u16_d16_hi v129, v[vgprLocalReadAddrA] offset:8704 // L -> Reg lro=4096 swapByteOffset=0 ti=256 vIdx=0 rIdx=1 oIdx=0 buffer=2 iui=0
_ds_load_u16_d16_hi v130, v[vgprLocalReadAddrA] offset:9728 // L -> Reg lro=4096 swapByteOffset=0 ti=256 vIdx=0 rIdx=3 oIdx=0 buffer=2 iui=0
	;; [unrolled: 1-line block ×4, first 2 shown]
/* localReadsVacancy: latencyLeft 5 */
_ds_load_b64 v[vgprValuB_X3_I0+0:vgprValuB_X3_I0+0+1], v[vgprLocalReadAddrB] offset:48 // L -> Reg lro=24 swapByteOffset=0 ti=64 vIdx=0 rIdx=0 oIdx=0 buffer=3 iui=0
_ds_load_u16 v[vgprValuA_X3_I0+2], v[vgprLocalReadAddrA] offset:12290 // L -> Reg lro=6144 swapByteOffset=0 ti=256 vIdx=0 rIdx=0 oIdx=0 buffer=3 iui=0
s_waitcnt lgkmcnt(14)                              // lgkmcnt=0 vmcnt=-1wait for prior local read local write old=6, new=10 newLW=0 newLR=4
/* pack scheduling: packAIdx:2, packBIdx:0 */
v_or_b32 v[vgprValuA_X1_I0+0], v[vgprValuA_X1_I0+0], v133 // pack two half Vgpr to one Vgpr
v_or_b32 v[vgprValuA_X1_I0+1], v[vgprValuA_X1_I0+1], v134 // pack two half Vgpr to one Vgpr
	;; [unrolled: 1-line block ×4, first 2 shown]
v_mfma_f32_32x32x8bf16_1k v[0+0:15+0], v[vgprValuB_X1_I0+0+0+0:vgprValuB_X1_I0+0+0+0+1], v[vgprValuA_X1_I0+0+0+0:vgprValuA_X1_I0+0+0+0+1], v[0:15]
/*  mfmaIndex:5  */
/* localReadsVacancy: latencyLeft 13 */
_ds_load_u16 v[vgprValuA_X3_I0+3], v[vgprLocalReadAddrA] offset:13314 // L -> Reg lro=6144 swapByteOffset=0 ti=256 vIdx=0 rIdx=2 oIdx=0 buffer=3 iui=0
_ds_load_b64 v[vgprValuB_X3_I0+2:vgprValuB_X3_I0+2+1], v[vgprLocalReadAddrB] offset:112 // L -> Reg lro=24 swapByteOffset=0 ti=64 vIdx=0 rIdx=0 oIdx=0 buffer=3 iui=0
v_mfma_f32_32x32x8bf16_1k v[16+0:31+0], v[vgprValuB_X1_I0+0+0+0:vgprValuB_X1_I0+0+0+0+1], v[vgprValuA_X1_I0+2+0+0:vgprValuA_X1_I0+2+0+0+1], v[16:31]
/*  mfmaIndex:6  */
/* localReadsVacancy: latencyLeft 13 */
v_mfma_f32_32x32x8bf16_1k v[48+0:63+0], v[vgprValuB_X1_I0+2+0+0:vgprValuB_X1_I0+2+0+0+1], v[vgprValuA_X1_I0+2+0+0:vgprValuA_X1_I0+2+0+0+1], v[48:63]
/*  mfmaIndex:7  */
/* localReadsVacancy: latencyLeft 13 */
v_mfma_f32_32x32x8bf16_1k v[32+0:47+0], v[vgprValuB_X1_I0+2+0+0:vgprValuB_X1_I0+2+0+0+1], v[vgprValuA_X1_I0+0+0+0:vgprValuA_X1_I0+0+0+0+1], v[32:47]
/* numPrefetchIter=0 */
/* dataAtIterA=0 numReadsIterA=2 skipReadsIterA=1 readsPerIterA=8 */
/* dataAtIterB=0 numReadsIterB=2 skipReadsIterB=1 readsPerIterB=2 */


/* iter 2 (reset local read pointers iteration)  (swap and reset local write pointers iteration)  (swap local read pointers iteration)  */

/*  grEndMfmaIndex:2, lwStartMfmaIndex:11, lwEndMfmaIndex:11  */
/*  numMfmaForLR:2, barrierMfmaIndex:13, LocalWritePerMfma:5.000 */
/*  mfmaIndex:8  */
_ds_load_u16_d16_hi v133, v[vgprLocalReadAddrA] offset:12800 // L -> Reg lro=6144 swapByteOffset=0 ti=256 vIdx=0 rIdx=1 oIdx=0 buffer=3 iui=0
_ds_load_u16_d16_hi v134, v[vgprLocalReadAddrA] offset:13824 // L -> Reg lro=6144 swapByteOffset=0 ti=256 vIdx=0 rIdx=3 oIdx=0 buffer=3 iui=0
	;; [unrolled: 1-line block ×4, first 2 shown]
/* localReadsVacancy: latencyLeft 5 */
s_waitcnt lgkmcnt(8)                               // lgkmcnt=0 vmcnt=-1wait for prior local read local write old=4, new=8 newLW=0 newLR=4
/* pack scheduling: packAIdx:2, packBIdx:0 */
v_or_b32 v[vgprValuA_X2_I0+0], v[vgprValuA_X2_I0+0], v129 // pack two half Vgpr to one Vgpr
v_or_b32 v[vgprValuA_X2_I0+1], v[vgprValuA_X2_I0+1], v130 // pack two half Vgpr to one Vgpr
	;; [unrolled: 1-line block ×4, first 2 shown]
v_mfma_f32_32x32x8bf16_1k v[0+0:15+0], v[vgprValuB_X2_I0+0+0+0:vgprValuB_X2_I0+0+0+0+1], v[vgprValuA_X2_I0+0+0+0:vgprValuA_X2_I0+0+0+0+1], v[0:15]
/*  mfmaIndex:9  */
/* localReadsVacancy: latencyLeft 13 */
v_mfma_f32_32x32x8bf16_1k v[16+0:31+0], v[vgprValuB_X2_I0+0+0+0:vgprValuB_X2_I0+0+0+0+1], v[vgprValuA_X2_I0+2+0+0:vgprValuA_X2_I0+2+0+0+1], v[16:31]
/*  mfmaIndex:10  */
/* localReadsVacancy: latencyLeft 13 */
/* 1 LDS buffer: read-sync-write */
s_waitcnt lgkmcnt(0)                               // 
s_barrier                                          // 
v_mfma_f32_32x32x8bf16_1k v[48+0:63+0], v[vgprValuB_X2_I0+2+0+0:vgprValuB_X2_I0+2+0+0+1], v[vgprValuA_X2_I0+2+0+0:vgprValuA_X2_I0+2+0+0+1], v[48:63]
/*  mfmaIndex:11  */
/* sched write - iter 2 writesPerItem=1 */
s_waitcnt vmcnt(0)                                 // lgkmcnt=-1 vmcnt=0wait for global read before writing to local
v_cvt_f32_f16 v[vgprG2Lpipe0], v[vgprG2LA+0]       // 
v_cvt_f32_f16 v[vgprG2Lpipe1], v[vgprG2LA+0], src0_sel:WORD_1 // 
v_pack_b32_f16 v[vgprG2LA+0], v[vgprG2Lpipe0], v[vgprG2Lpipe1], op_sel:[1,1,0] // 
v_cvt_f32_f16 v[vgprG2Lpipe0], v[vgprG2LA+1]       // 
v_cvt_f32_f16 v[vgprG2Lpipe1], v[vgprG2LA+1], src0_sel:WORD_1 // 
v_pack_b32_f16 v[vgprG2LA+1], v[vgprG2Lpipe0], v[vgprG2Lpipe1], op_sel:[1,1,0] // 
	;; [unrolled: 3-line block ×4, first 2 shown]
_ds_store_b128 v[vgprLocalWriteAddrA], v[vgprG2LA+0:vgprG2LA+0+3] offset:0 // lwoA_0_0_0_0 = (0*LSCA) + (0*LSPA)(*MT0I+PAD) = 0
/* sched write - iter 2 writesPerItem=1 */
s_waitcnt vmcnt(0)                                 // lgkmcnt=-1 vmcnt=0wait for global read before writing to local
v_cvt_f32_f16 v[vgprG2Lpipe0], v[vgprG2LA+4]       // 
v_cvt_f32_f16 v[vgprG2Lpipe1], v[vgprG2LA+4], src0_sel:WORD_1 // 
v_pack_b32_f16 v[vgprG2LA+4], v[vgprG2Lpipe0], v[vgprG2Lpipe1], op_sel:[1,1,0] // 
v_cvt_f32_f16 v[vgprG2Lpipe0], v[vgprG2LA+5]       // 
v_cvt_f32_f16 v[vgprG2Lpipe1], v[vgprG2LA+5], src0_sel:WORD_1 // 
v_pack_b32_f16 v[vgprG2LA+5], v[vgprG2Lpipe0], v[vgprG2Lpipe1], op_sel:[1,1,0] // 
	;; [unrolled: 3-line block ×4, first 2 shown]
_ds_store_b128 v[vgprLocalWriteAddrA], v[vgprG2LA+4:vgprG2LA+4+3] offset:4096 // lwoA_0_0_1_0 = (0*LSCA) + (1*LSPA)(*MT0I+PAD) = 4096
/* sched write - iter 2 writesPerItem=1 */
s_waitcnt vmcnt(0)                                 // lgkmcnt=-1 vmcnt=0wait for global read before writing to local
v_cvt_f32_f16 v[vgprG2Lpipe0], v[vgprG2LA+8]       // 
v_cvt_f32_f16 v[vgprG2Lpipe1], v[vgprG2LA+8], src0_sel:WORD_1 // 
v_pack_b32_f16 v[vgprG2LA+8], v[vgprG2Lpipe0], v[vgprG2Lpipe1], op_sel:[1,1,0] // 
v_cvt_f32_f16 v[vgprG2Lpipe0], v[vgprG2LA+9]       // 
v_cvt_f32_f16 v[vgprG2Lpipe1], v[vgprG2LA+9], src0_sel:WORD_1 // 
v_pack_b32_f16 v[vgprG2LA+9], v[vgprG2Lpipe0], v[vgprG2Lpipe1], op_sel:[1,1,0] // 
v_cvt_f32_f16 v[vgprG2Lpipe0], v[vgprG2LA+10]      // 
v_cvt_f32_f16 v[vgprG2Lpipe1], v[vgprG2LA+10], src0_sel:WORD_1 // 
v_pack_b32_f16 v[vgprG2LA+10], v[vgprG2Lpipe0], v[vgprG2Lpipe1], op_sel:[1,1,0] // 
v_cvt_f32_f16 v[vgprG2Lpipe0], v[vgprG2LA+11]      // 
v_cvt_f32_f16 v[vgprG2Lpipe1], v[vgprG2LA+11], src0_sel:WORD_1 // 
v_pack_b32_f16 v[vgprG2LA+11], v[vgprG2Lpipe0], v[vgprG2Lpipe1], op_sel:[1,1,0] // 
_ds_store_b128 v[vgprLocalWriteAddrA], v[vgprG2LA+8:vgprG2LA+8+3] offset:8192 // lwoA_0_0_2_0 = (0*LSCA) + (2*LSPA)(*MT0I+PAD) = 8192
/* sched write - iter 2 writesPerItem=1 */
s_waitcnt vmcnt(0)                                 // lgkmcnt=-1 vmcnt=0wait for global read before writing to local
v_cvt_f32_f16 v[vgprG2Lpipe0], v[vgprG2LA+12]      // 
v_cvt_f32_f16 v[vgprG2Lpipe1], v[vgprG2LA+12], src0_sel:WORD_1 // 
v_pack_b32_f16 v[vgprG2LA+12], v[vgprG2Lpipe0], v[vgprG2Lpipe1], op_sel:[1,1,0] // 
v_cvt_f32_f16 v[vgprG2Lpipe0], v[vgprG2LA+13]      // 
v_cvt_f32_f16 v[vgprG2Lpipe1], v[vgprG2LA+13], src0_sel:WORD_1 // 
v_pack_b32_f16 v[vgprG2LA+13], v[vgprG2Lpipe0], v[vgprG2Lpipe1], op_sel:[1,1,0] // 
	;; [unrolled: 3-line block ×4, first 2 shown]
_ds_store_b128 v[vgprLocalWriteAddrA], v[vgprG2LA+12:vgprG2LA+12+3] offset:12288 // lwoA_0_0_3_0 = (0*LSCA) + (3*LSPA)(*MT0I+PAD) = 12288
/* sched write - iter 2 writesPerItem=1 */
s_waitcnt vmcnt(0)                                 // lgkmcnt=-1 vmcnt=0wait for global read before writing to local
v_cvt_f32_f16 v[vgprG2Lpipe0], v[vgprG2LB+0]       // 
v_cvt_f32_f16 v[vgprG2Lpipe1], v[vgprG2LB+0], src0_sel:WORD_1 // 
v_pack_b32_f16 v[vgprG2LB+0], v[vgprG2Lpipe0], v[vgprG2Lpipe1], op_sel:[1,1,0] // 
v_cvt_f32_f16 v[vgprG2Lpipe0], v[vgprG2LB+1]       // 
v_cvt_f32_f16 v[vgprG2Lpipe1], v[vgprG2LB+1], src0_sel:WORD_1 // 
v_pack_b32_f16 v[vgprG2LB+1], v[vgprG2Lpipe0], v[vgprG2Lpipe1], op_sel:[1,1,0] // 
	;; [unrolled: 3-line block ×4, first 2 shown]
_ds_store_b128 v[vgprLocalWriteAddrB], v[vgprG2LB+0:vgprG2LB+0+3] offset:0 // lwoB_0_0_0_0 = (0*LSCB)*(MT1J+PAD) + (0*LSPB) = 0

/* local write swap offsets a */

/* local write swap offsets b */

/* local read swap offsets a */

/* local read swap offsets b */

/* local read init pointers a */

/* localReadInitPointers */

/* local read init pointers b */

/* localReadInitPointers */
v_mfma_f32_32x32x8bf16_1k v[32+0:47+0], v[vgprValuB_X2_I0+2+0+0:vgprValuB_X2_I0+2+0+0+1], v[vgprValuA_X2_I0+0+0+0:vgprValuA_X2_I0+0+0+0+1], v[32:47]
/* numPrefetchIter=0 */
/* dataAtIterA=1 numReadsIterA=3 skipReadsIterA=1 readsPerIterA=8 */
/* dataAtIterB=1 numReadsIterB=3 skipReadsIterB=1 readsPerIterB=2 */


/* iter 3 */

/*  grEndMfmaIndex:2, lwStartMfmaIndex:11, lwEndMfmaIndex:11  */
/*  numMfmaForLR:2, barrierMfmaIndex:13, LocalWritePerMfma:5.000 */
/*  mfmaIndex:12  */
/* pack scheduling: packAIdx:2, packBIdx:0 */
v_or_b32 v[vgprValuA_X3_I0+0], v[vgprValuA_X3_I0+0], v133 // pack two half Vgpr to one Vgpr
v_or_b32 v[vgprValuA_X3_I0+1], v[vgprValuA_X3_I0+1], v134 // pack two half Vgpr to one Vgpr
	;; [unrolled: 1-line block ×4, first 2 shown]
v_mfma_f32_32x32x8bf16_1k v[0+0:15+0], v[vgprValuB_X3_I0+0+0+0:vgprValuB_X3_I0+0+0+0+1], v[vgprValuA_X3_I0+0+0+0:vgprValuA_X3_I0+0+0+0+1], v[0:15]
/*  mfmaIndex:13  */
s_waitcnt lgkmcnt(0)                               // lgkmcnt=0 vmcnt=-13wait for local write
// Skip force waitcnt0
s_barrier //
v_mfma_f32_32x32x8bf16_1k v[16+0:31+0], v[vgprValuB_X3_I0+0+0+0:vgprValuB_X3_I0+0+0+0+1], v[vgprValuA_X3_I0+2+0+0:vgprValuA_X3_I0+2+0+0+1], v[16:31]
/*  mfmaIndex:14  */
_ds_load_u16 v[vgprValuA_X0_I0+0], v[vgprLocalReadAddrA] offset:0 // L -> Reg lro=0 swapByteOffset=0 ti=256 vIdx=0 rIdx=0 oIdx=0 buffer=0 iui=0
_ds_load_u16_d16_hi v129, v[vgprLocalReadAddrA] offset:512 // L -> Reg lro=0 swapByteOffset=0 ti=256 vIdx=0 rIdx=1 oIdx=0 buffer=0 iui=0
_ds_load_u16 v[vgprValuA_X0_I0+1], v[vgprLocalReadAddrA] offset:1024 // L -> Reg lro=0 swapByteOffset=0 ti=256 vIdx=0 rIdx=2 oIdx=0 buffer=0 iui=0
_ds_load_u16_d16_hi v130, v[vgprLocalReadAddrA] offset:1536 // L -> Reg lro=0 swapByteOffset=0 ti=256 vIdx=0 rIdx=3 oIdx=0 buffer=0 iui=0
_ds_load_b64 v[vgprValuB_X0_I0+0:vgprValuB_X0_I0+0+1], v[vgprLocalReadAddrB] offset:0 // L -> Reg lro=0 swapByteOffset=0 ti=64 vIdx=0 rIdx=0 oIdx=0 buffer=0 iui=0
_ds_load_u16 v[vgprValuA_X0_I0+2], v[vgprLocalReadAddrA] offset:2 // L -> Reg lro=0 swapByteOffset=0 ti=256 vIdx=0 rIdx=0 oIdx=0 buffer=0 iui=0
v_mfma_f32_32x32x8bf16_1k v[48+0:63+0], v[vgprValuB_X3_I0+2+0+0:vgprValuB_X3_I0+2+0+0+1], v[vgprValuA_X3_I0+2+0+0:vgprValuA_X3_I0+2+0+0+1], v[48:63]
/*  mfmaIndex:15  */
_ds_load_u16_d16_hi v131, v[vgprLocalReadAddrA] offset:514 // L -> Reg lro=0 swapByteOffset=0 ti=256 vIdx=0 rIdx=1 oIdx=0 buffer=0 iui=0
_ds_load_u16 v[vgprValuA_X0_I0+3], v[vgprLocalReadAddrA] offset:1026 // L -> Reg lro=0 swapByteOffset=0 ti=256 vIdx=0 rIdx=2 oIdx=0 buffer=0 iui=0
_ds_load_u16_d16_hi v132, v[vgprLocalReadAddrA] offset:1538 // L -> Reg lro=0 swapByteOffset=0 ti=256 vIdx=0 rIdx=3 oIdx=0 buffer=0 iui=0
_ds_load_b64 v[vgprValuB_X0_I0+2:vgprValuB_X0_I0+2+1], v[vgprLocalReadAddrB] offset:64 // L -> Reg lro=0 swapByteOffset=0 ti=64 vIdx=0 rIdx=0 oIdx=0 buffer=0 iui=0
v_mfma_f32_32x32x8bf16_1k v[32+0:47+0], v[vgprValuB_X3_I0+2+0+0:vgprValuB_X3_I0+2+0+0+1], v[vgprValuA_X3_I0+0+0+0:vgprValuA_X3_I0+0+0+0+1], v[32:47]

label_0014:


/******************************************/
/* Opt. NoLoadLoop Without PAP - Begin                                      */
/******************************************/

s_cmpk_eq_u32 s[sgprBeta], 0x0                     // Beta == 0
s_cbranch_scc0 OptNLL_End_16                       // Branch if Beta is not zero

s_cmp_eq_u32 s[sgprAlpha], 1.0                     // Alpha == 1.0 ?
s_cbranch_scc0 OptNLL_End_16                       // branch if alpha != 1

s_and_b32 s32, 255, s[sgprSizeI]                   // s32 = s[sgprSizeI] % 256
s_add_u32 s33, -0x1, s[sgprNumWorkGroups0]         // 
s_cmp_ge_u32 s[sgprWorkGroup0], s33                // wg0 >= nwg0-1 ?
s_cselect_b32 s32, s32, 0                          // set rMT0
s_cmpk_gt_u32 s32, 0x0                             // rMT0 > 0
s_cbranch_scc1 OptNLL_End_16                       // jump if edges required
s_and_b32 s32, 63, s[sgprSizeJ]                    // s32 = s[sgprSizeJ] % 64
s_add_u32 s33, -0x1, s[sgprNumWorkGroups1]         // 
s_cmp_ge_u32 s[sgprWorkGroup1], s33                // wg1 >= nwg1-1
s_cselect_b32 s32, s32, 0                          // set rMT1
s_cmpk_gt_u32 s32, 0x0                             // rMT1 > 0
s_cbranch_scc1 OptNLL_End_16                       // jump if edges required

s_and_b32 s33, 31, s[sgprSizesSum+0]               // s33 = s[sgprSizesSum+0] % 32
s_cmp_eq_u32 s33, 0x0                              // numIterL == 0
s_cbranch_scc0 OptNLL_End_16                       // skip if tail loop required


	;; [unrolled: 1-line block ×3, first 2 shown]
/* iter 0 (last unrolled loop) */

/*  grEndMfmaIndex:0, lwStartMfmaIndex:11, lwEndMfmaIndex:11  */
/*  numMfmaForLR:2, barrierMfmaIndex:13, LocalWritePerMfma:5.000 */
/*  mfmaIndex:0  */
s_waitcnt lgkmcnt(0)                               // lgkmcnt=0 vmcnt=-1wait for prior local read local write old=0, new=0 newLW=0 newLR=0
/* pack scheduling: packAIdx:2, packBIdx:0 */
v_or_b32 v[vgprValuA_X0_I0+0], v[vgprValuA_X0_I0+0], v129 // pack two half Vgpr to one Vgpr
v_or_b32 v[vgprValuA_X0_I0+1], v[vgprValuA_X0_I0+1], v130 // pack two half Vgpr to one Vgpr
	;; [unrolled: 1-line block ×4, first 2 shown]
v_mfma_f32_32x32x8bf16_1k v[0+0:15+0], v[vgprValuB_X0_I0+0+0+0:vgprValuB_X0_I0+0+0+0+1], v[vgprValuA_X0_I0+0+0+0:vgprValuA_X0_I0+0+0+0+1], v[0:15]
/*  mfmaIndex:1  */
_ds_load_u16 v[vgprValuA_X1_I0+0], v[vgprLocalReadAddrA] offset:4096 // L -> Reg lro=2048 swapByteOffset=0 ti=256 vIdx=0 rIdx=0 oIdx=0 buffer=1 iui=0
_ds_load_u16_d16_hi v133, v[vgprLocalReadAddrA] offset:4608 // L -> Reg lro=2048 swapByteOffset=0 ti=256 vIdx=0 rIdx=1 oIdx=0 buffer=1 iui=0
_ds_load_u16 v[vgprValuA_X1_I0+1], v[vgprLocalReadAddrA] offset:5120 // L -> Reg lro=2048 swapByteOffset=0 ti=256 vIdx=0 rIdx=2 oIdx=0 buffer=1 iui=0
_ds_load_u16_d16_hi v134, v[vgprLocalReadAddrA] offset:5632 // L -> Reg lro=2048 swapByteOffset=0 ti=256 vIdx=0 rIdx=3 oIdx=0 buffer=1 iui=0
_ds_load_b64 v[vgprValuB_X1_I0+0:vgprValuB_X1_I0+0+1], v[vgprLocalReadAddrB] offset:16 // L -> Reg lro=8 swapByteOffset=0 ti=64 vIdx=0 rIdx=0 oIdx=0 buffer=1 iui=0
_ds_load_u16 v[vgprValuA_X1_I0+2], v[vgprLocalReadAddrA] offset:4098 // L -> Reg lro=2048 swapByteOffset=0 ti=256 vIdx=0 rIdx=0 oIdx=0 buffer=1 iui=0
v_mfma_f32_32x32x8bf16_1k v[16+0:31+0], v[vgprValuB_X0_I0+0+0+0:vgprValuB_X0_I0+0+0+0+1], v[vgprValuA_X0_I0+2+0+0:vgprValuA_X0_I0+2+0+0+1], v[16:31]
/*  mfmaIndex:2  */
_ds_load_u16_d16_hi v135, v[vgprLocalReadAddrA] offset:4610 // L -> Reg lro=2048 swapByteOffset=0 ti=256 vIdx=0 rIdx=1 oIdx=0 buffer=1 iui=0
_ds_load_u16 v[vgprValuA_X1_I0+3], v[vgprLocalReadAddrA] offset:5122 // L -> Reg lro=2048 swapByteOffset=0 ti=256 vIdx=0 rIdx=2 oIdx=0 buffer=1 iui=0
_ds_load_u16_d16_hi v136, v[vgprLocalReadAddrA] offset:5634 // L -> Reg lro=2048 swapByteOffset=0 ti=256 vIdx=0 rIdx=3 oIdx=0 buffer=1 iui=0
_ds_load_b64 v[vgprValuB_X1_I0+2:vgprValuB_X1_I0+2+1], v[vgprLocalReadAddrB] offset:80 // L -> Reg lro=8 swapByteOffset=0 ti=64 vIdx=0 rIdx=0 oIdx=0 buffer=1 iui=0
/* localReadsVacancy: latencyLeft 5 */
_ds_load_u16 v[vgprValuA_X2_I0+0], v[vgprLocalReadAddrA] offset:8192 // L -> Reg lro=4096 swapByteOffset=0 ti=256 vIdx=0 rIdx=0 oIdx=0 buffer=2 iui=0
_ds_load_u16 v[vgprValuA_X2_I0+1], v[vgprLocalReadAddrA] offset:9216 // L -> Reg lro=4096 swapByteOffset=0 ti=256 vIdx=0 rIdx=2 oIdx=0 buffer=2 iui=0
v_mfma_f32_32x32x8bf16_1k v[48+0:63+0], v[vgprValuB_X0_I0+2+0+0:vgprValuB_X0_I0+2+0+0+1], v[vgprValuA_X0_I0+2+0+0:vgprValuA_X0_I0+2+0+0+1], v[48:63]
/*  mfmaIndex:3  */
/* localReadsVacancy: latencyLeft 13 */
_ds_load_b64 v[vgprValuB_X2_I0+0:vgprValuB_X2_I0+0+1], v[vgprLocalReadAddrB] offset:32 // L -> Reg lro=16 swapByteOffset=0 ti=64 vIdx=0 rIdx=0 oIdx=0 buffer=2 iui=0
_ds_load_u16 v[vgprValuA_X2_I0+2], v[vgprLocalReadAddrA] offset:8194 // L -> Reg lro=4096 swapByteOffset=0 ti=256 vIdx=0 rIdx=0 oIdx=0 buffer=2 iui=0
_ds_load_u16 v[vgprValuA_X2_I0+3], v[vgprLocalReadAddrA] offset:9218 // L -> Reg lro=4096 swapByteOffset=0 ti=256 vIdx=0 rIdx=2 oIdx=0 buffer=2 iui=0
_ds_load_b64 v[vgprValuB_X2_I0+2:vgprValuB_X2_I0+2+1], v[vgprLocalReadAddrB] offset:96 // L -> Reg lro=16 swapByteOffset=0 ti=64 vIdx=0 rIdx=0 oIdx=0 buffer=2 iui=0
_ds_load_u16 v[vgprValuA_X3_I0+0], v[vgprLocalReadAddrA] offset:12288 // L -> Reg lro=6144 swapByteOffset=0 ti=256 vIdx=0 rIdx=0 oIdx=0 buffer=3 iui=0
_ds_load_u16 v[vgprValuA_X3_I0+1], v[vgprLocalReadAddrA] offset:13312 // L -> Reg lro=6144 swapByteOffset=0 ti=256 vIdx=0 rIdx=2 oIdx=0 buffer=3 iui=0
v_mfma_f32_32x32x8bf16_1k v[32+0:47+0], v[vgprValuB_X0_I0+2+0+0:vgprValuB_X0_I0+2+0+0+1], v[vgprValuA_X0_I0+0+0+0:vgprValuA_X0_I0+0+0+0+1], v[32:47]
/* numPrefetchIter=0 */
/* dataAtIterA=-1 numReadsIterA=1 skipReadsIterA=1 readsPerIterA=8 */
/* dataAtIterB=-1 numReadsIterB=1 skipReadsIterB=1 readsPerIterB=2 */


/* iter 1 (last unrolled loop) */

/*  grEndMfmaIndex:0, lwStartMfmaIndex:11, lwEndMfmaIndex:11  */
/*  numMfmaForLR:2, barrierMfmaIndex:13, LocalWritePerMfma:5.000 */
/*  mfmaIndex:4  */
_ds_load_u16_d16_hi v129, v[vgprLocalReadAddrA] offset:8704 // L -> Reg lro=4096 swapByteOffset=0 ti=256 vIdx=0 rIdx=1 oIdx=0 buffer=2 iui=0
_ds_load_u16_d16_hi v130, v[vgprLocalReadAddrA] offset:9728 // L -> Reg lro=4096 swapByteOffset=0 ti=256 vIdx=0 rIdx=3 oIdx=0 buffer=2 iui=0
_ds_load_u16_d16_hi v131, v[vgprLocalReadAddrA] offset:8706 // L -> Reg lro=4096 swapByteOffset=0 ti=256 vIdx=0 rIdx=1 oIdx=0 buffer=2 iui=0
_ds_load_u16_d16_hi v132, v[vgprLocalReadAddrA] offset:9730 // L -> Reg lro=4096 swapByteOffset=0 ti=256 vIdx=0 rIdx=3 oIdx=0 buffer=2 iui=0
/* localReadsVacancy: latencyLeft 5 */
_ds_load_b64 v[vgprValuB_X3_I0+0:vgprValuB_X3_I0+0+1], v[vgprLocalReadAddrB] offset:48 // L -> Reg lro=24 swapByteOffset=0 ti=64 vIdx=0 rIdx=0 oIdx=0 buffer=3 iui=0
_ds_load_u16 v[vgprValuA_X3_I0+2], v[vgprLocalReadAddrA] offset:12290 // L -> Reg lro=6144 swapByteOffset=0 ti=256 vIdx=0 rIdx=0 oIdx=0 buffer=3 iui=0
s_waitcnt lgkmcnt(14)                              // lgkmcnt=0 vmcnt=-1wait for prior local read local write old=6, new=10 newLW=0 newLR=4
/* pack scheduling: packAIdx:2, packBIdx:0 */
v_or_b32 v[vgprValuA_X1_I0+0], v[vgprValuA_X1_I0+0], v133 // pack two half Vgpr to one Vgpr
v_or_b32 v[vgprValuA_X1_I0+1], v[vgprValuA_X1_I0+1], v134 // pack two half Vgpr to one Vgpr
	;; [unrolled: 1-line block ×4, first 2 shown]
v_mfma_f32_32x32x8bf16_1k v[0+0:15+0], v[vgprValuB_X1_I0+0+0+0:vgprValuB_X1_I0+0+0+0+1], v[vgprValuA_X1_I0+0+0+0:vgprValuA_X1_I0+0+0+0+1], v[0:15]
/*  mfmaIndex:5  */
/* localReadsVacancy: latencyLeft 13 */
_ds_load_u16 v[vgprValuA_X3_I0+3], v[vgprLocalReadAddrA] offset:13314 // L -> Reg lro=6144 swapByteOffset=0 ti=256 vIdx=0 rIdx=2 oIdx=0 buffer=3 iui=0
_ds_load_b64 v[vgprValuB_X3_I0+2:vgprValuB_X3_I0+2+1], v[vgprLocalReadAddrB] offset:112 // L -> Reg lro=24 swapByteOffset=0 ti=64 vIdx=0 rIdx=0 oIdx=0 buffer=3 iui=0
v_mfma_f32_32x32x8bf16_1k v[16+0:31+0], v[vgprValuB_X1_I0+0+0+0:vgprValuB_X1_I0+0+0+0+1], v[vgprValuA_X1_I0+2+0+0:vgprValuA_X1_I0+2+0+0+1], v[16:31]
/*  mfmaIndex:6  */
/* localReadsVacancy: latencyLeft 13 */
v_mfma_f32_32x32x8bf16_1k v[48+0:63+0], v[vgprValuB_X1_I0+2+0+0:vgprValuB_X1_I0+2+0+0+1], v[vgprValuA_X1_I0+2+0+0:vgprValuA_X1_I0+2+0+0+1], v[48:63]
/*  mfmaIndex:7  */
/* localReadsVacancy: latencyLeft 13 */
v_mfma_f32_32x32x8bf16_1k v[32+0:47+0], v[vgprValuB_X1_I0+2+0+0:vgprValuB_X1_I0+2+0+0+1], v[vgprValuA_X1_I0+0+0+0:vgprValuA_X1_I0+0+0+0+1], v[32:47]
/* numPrefetchIter=0 */
/* dataAtIterA=0 numReadsIterA=2 skipReadsIterA=1 readsPerIterA=8 */
/* dataAtIterB=0 numReadsIterB=2 skipReadsIterB=1 readsPerIterB=2 */


/* iter 2 (last unrolled loop) */

/*  grEndMfmaIndex:0, lwStartMfmaIndex:11, lwEndMfmaIndex:11  */
/*  numMfmaForLR:2, barrierMfmaIndex:13, LocalWritePerMfma:5.000 */
/*  mfmaIndex:8  */
_ds_load_u16_d16_hi v133, v[vgprLocalReadAddrA] offset:12800 // L -> Reg lro=6144 swapByteOffset=0 ti=256 vIdx=0 rIdx=1 oIdx=0 buffer=3 iui=0
_ds_load_u16_d16_hi v134, v[vgprLocalReadAddrA] offset:13824 // L -> Reg lro=6144 swapByteOffset=0 ti=256 vIdx=0 rIdx=3 oIdx=0 buffer=3 iui=0
	;; [unrolled: 1-line block ×4, first 2 shown]
/* localReadsVacancy: latencyLeft 5 */
s_waitcnt lgkmcnt(8)                               // lgkmcnt=0 vmcnt=-1wait for prior local read local write old=4, new=8 newLW=0 newLR=4
/* pack scheduling: packAIdx:2, packBIdx:0 */
v_or_b32 v[vgprValuA_X2_I0+0], v[vgprValuA_X2_I0+0], v129 // pack two half Vgpr to one Vgpr
v_or_b32 v[vgprValuA_X2_I0+1], v[vgprValuA_X2_I0+1], v130 // pack two half Vgpr to one Vgpr
	;; [unrolled: 1-line block ×4, first 2 shown]
v_mfma_f32_32x32x8bf16_1k v[0+0:15+0], v[vgprValuB_X2_I0+0+0+0:vgprValuB_X2_I0+0+0+0+1], v[vgprValuA_X2_I0+0+0+0:vgprValuA_X2_I0+0+0+0+1], v[0:15]
/*  mfmaIndex:9  */
/* localReadsVacancy: latencyLeft 13 */
v_mfma_f32_32x32x8bf16_1k v[16+0:31+0], v[vgprValuB_X2_I0+0+0+0:vgprValuB_X2_I0+0+0+0+1], v[vgprValuA_X2_I0+2+0+0:vgprValuA_X2_I0+2+0+0+1], v[16:31]
/*  mfmaIndex:10  */
/* localReadsVacancy: latencyLeft 13 */
/* 1 LDS buffer: read-sync-write */
s_waitcnt lgkmcnt(0)                               // 
s_barrier                                          // 
v_mfma_f32_32x32x8bf16_1k v[48+0:63+0], v[vgprValuB_X2_I0+2+0+0:vgprValuB_X2_I0+2+0+0+1], v[vgprValuA_X2_I0+2+0+0:vgprValuA_X2_I0+2+0+0+1], v[48:63]
/*  mfmaIndex:11  */
/* localReadsVacancy: latencyLeft 13 */
v_mfma_f32_32x32x8bf16_1k v[32+0:47+0], v[vgprValuB_X2_I0+2+0+0:vgprValuB_X2_I0+2+0+0+1], v[vgprValuA_X2_I0+0+0+0:vgprValuA_X2_I0+0+0+0+1], v[32:47]
/* numPrefetchIter=0 */
/* dataAtIterA=1 numReadsIterA=3 skipReadsIterA=1 readsPerIterA=8 */
/* dataAtIterB=1 numReadsIterB=3 skipReadsIterB=1 readsPerIterB=2 */


/* iter 3 (last unrolled loop) */

/*  grEndMfmaIndex:0, lwStartMfmaIndex:11, lwEndMfmaIndex:11  */
/*  numMfmaForLR:2, barrierMfmaIndex:13, LocalWritePerMfma:5.000 */
/*  mfmaIndex:12  */
/* pack scheduling: packAIdx:2, packBIdx:0 */
v_or_b32 v[vgprValuA_X3_I0+0], v[vgprValuA_X3_I0+0], v133 // pack two half Vgpr to one Vgpr
v_or_b32 v[vgprValuA_X3_I0+1], v[vgprValuA_X3_I0+1], v134 // pack two half Vgpr to one Vgpr
	;; [unrolled: 1-line block ×4, first 2 shown]
v_mfma_f32_32x32x8bf16_1k v[0+0:15+0], v[vgprValuB_X3_I0+0+0+0:vgprValuB_X3_I0+0+0+0+1], v[vgprValuA_X3_I0+0+0+0:vgprValuA_X3_I0+0+0+0+1], v[0:15]
/*  mfmaIndex:13  */
v_mfma_f32_32x32x8bf16_1k v[16+0:31+0], v[vgprValuB_X3_I0+0+0+0:vgprValuB_X3_I0+0+0+0+1], v[vgprValuA_X3_I0+2+0+0:vgprValuA_X3_I0+2+0+0+1], v[16:31]
/*  mfmaIndex:14  */
	;; [unrolled: 2-line block ×3, first 2 shown]
v_mfma_f32_32x32x8bf16_1k v[32+0:47+0], v[vgprValuB_X3_I0+2+0+0:vgprValuB_X3_I0+2+0+0+1], v[vgprValuA_X3_I0+0+0+0:vgprValuA_X3_I0+0+0+0+1], v[32:47]

/* Stores for OptNLL */
Summation_End_OptNLL_17:
/* endSummation: add vgpr [64...124) to pool */
.set NumFullBlocks, UNDEF
.set WgmRemainder1, UNDEF
.set MagicNumberWgmRemainder1, UNDEF

/* Mapping of Acc register -> C Vgpr register */

/* Multiply MI out register with Alpha -> C Vgpr register */
/* computeStoreVgprs */
v_lshrrev_b32 v68, 6, v[vgprSerial]                // v68 = v[vgprSerial] / 64
v_and_b32 v65, 63, v[vgprSerial]                   // v65 = v[vgprSerial] % 64
v_lshrrev_b32 v65, 5, v65                          // v65 = v65 / 32
v_lshlrev_b32 v65, 0x2, v65                        // thread0 * continuous_output
v_lshrrev_b32 v69, 2, v68                          // v69 = v68 / 4
v_mul_lo_u32 v69, 0x20, v69                        // wave coordination offset 1
_v_add_lshl_u32 v65, v69, v65, 1                   // coordination 1 = vwb *(wave_id1 + tid1)
v_mul_lo_u32 v66, v65, s[sgprStrideC1J]            //  offset 1
v_mul_lo_u32 v67, v65, s[sgprStrideD1J]            //  offset 1
v_and_b32 v69, 3, v68                              // v69 = v68 % 4
v_mul_lo_u32 v69, 0x20, v69                        // wave coordination offset 0
v_and_b32 v64, 31, v[vgprSerial]                   // v64 = v[vgprSerial] % 32
_v_add_lshl_u32 v64, v69, v64, 1                   // coordination 0 = vwa *(wave_id0 + tid0)
s_mul_i32 s31, 256, s[sgprWorkGroup0]              // wgp0 * MT0
_v_add_u32 v64, s31, v64                           // coord 0 = (tid0/MI_m)*4 + waveG0*MIB_m + MT0*SG0
s_mul_i32 s31, 64, s[sgprWorkGroup1]               // wgp1 * MT1
_v_add_u32 v65, s31, v65                           // coord 1 = (tid0%MI_m) + waveG1*MIB_n + MT1*SG1
GW_B0_E0_20:

/* edge=0, allocate 2 sgpr. perBatchTmpS=2 perBatchMaskS=0 perElementMaskS=0 elementsPerBatch=44 */
/* optSingleColVgpr=1 optSharedColVgpr=0 optSGPRUsage=BufferLoad_Mask optSrdIncForRow=1 */

/******************************************/
/* Global Write Batch #0 (d1,d0,vc1,vc0) = */
/*    (0,0,0,0:vw2); (0,0,1,0:vw2); (0,0,2,0:vw2); (0,0,3,0:vw2); (0,0,4,0:vw2); (0,0,5,0:vw2); (0,0,6,0:vw2); (0,0,7,0:vw2); (1,0,0,0:vw2); (1,0,1,0:vw2); (1,0,2,0:vw2); (1,0,3,0:vw2); (1,0,4,0:vw2); (1,0,5,0:vw2); (1,0,6,0:vw2); (1,0,7,0:vw2); (2,0,0,0:vw2); (2,0,1,0:vw2); (2,0,2,0:vw2); (2,0,3,0:vw2); (2,0,4,0:vw2); (2,0,5,0:vw2); (2,0,6,0:vw2); (2,0,7,0:vw2); (3,0,0,0:vw2); (3,0,1,0:vw2); (3,0,2,0:vw2); (3,0,3,0:vw2); (3,0,4,0:vw2); (3,0,5,0:vw2); (3,0,6,0:vw2); (3,0,7,0:vw2) */
/******************************************/

/* calc coords, apply mask, and issue loads (if necessary) */
/* (d1,vc1,d0,vc0)=(0,0,0,0) */
/* (d1,vc1,d0,vc0)=(0,1,0,0) */
	;; [unrolled: 1-line block ×32, first 2 shown]
_v_add_lshl_u32 v70, v67, v64, 0x1                 // optSingleColVgpr scaleToBpe: sharedAddrVgpr <- cinRowPtr + coord0, scaled by BPE. BSHERE:coord0=64, coord0Vgpr=64
v_mov_b32 v[vgprValuC+72], v[vgprValuC+0] // copy MI out reg to vreg[0]
v_mov_b32 v[vgprValuC+73], v[vgprValuC+16] // copy MI out reg to vreg[1]
	;; [unrolled: 1-line block ×64, first 2 shown]

/* apply mask, calc new C and issue writes */
v_cvt_f16_f32 v[vgprValuC+72], v[vgprValuC+72]     // convert C to fp16
v_cvt_f16_f32 v[vgprValuC+73], v[vgprValuC+73]     // convert C to fp16
v_pack_b32_f16 v72, v[vgprValuC+72], v[vgprValuC+73] // Pack with neighbor
_buffer_store_b32 v72, v70, s[sgprSrdD:sgprSrdD+3], 0, offen, offset:0 // store D
v_cvt_f16_f32 v[vgprValuC+74], v[vgprValuC+74]     // convert C to fp16
v_cvt_f16_f32 v[vgprValuC+75], v[vgprValuC+75]     // convert C to fp16
v_pack_b32_f16 v74, v[vgprValuC+74], v[vgprValuC+75] // Pack with neighbor
s_lshl_b32  s32, s[sgprStrideD1J], 1               // incToNextRow: Scale by BPE
s_add_u32  s[sgprSrdD+0], s[sgprSrdD+0], s32       // incToNextRow: gra SRD += inc(lower)
s_addc_u32  s[sgprSrdD+1], s[sgprSrdD+1], 0        // incToNextRow: gra SRD += inc(upper)
_buffer_store_b32 v74, v70, s[sgprSrdD:sgprSrdD+3], 0, offen, offset:0 // store D
v_cvt_f16_f32 v[vgprValuC+76], v[vgprValuC+76]     // convert C to fp16
v_cvt_f16_f32 v[vgprValuC+77], v[vgprValuC+77]     // convert C to fp16
v_pack_b32_f16 v76, v[vgprValuC+76], v[vgprValuC+77] // Pack with neighbor
s_lshl_b32  s32, s[sgprStrideD1J], 1               // incToNextRow: Scale by BPE
s_add_u32  s[sgprSrdD+0], s[sgprSrdD+0], s32       // incToNextRow: gra SRD += inc(lower)
s_addc_u32  s[sgprSrdD+1], s[sgprSrdD+1], 0        // incToNextRow: gra SRD += inc(upper)
	;; [unrolled: 7-line block ×7, first 2 shown]
_buffer_store_b32 v86, v70, s[sgprSrdD:sgprSrdD+3], 0, offen, offset:0 // store D
v_cvt_f16_f32 v[vgprValuC+88], v[vgprValuC+88]     // convert C to fp16
v_cvt_f16_f32 v[vgprValuC+89], v[vgprValuC+89]     // convert C to fp16
v_pack_b32_f16 v88, v[vgprValuC+88], v[vgprValuC+89] // Pack with neighbor
s_mul_i32 s32, s[sgprStrideD1J], 18                // scale StrideD *= numRows(9) * bpe
s_add_u32  s[sgprSrdD+0], s[sgprSrdD+0], s32       // incToNextRow: gra SRD += inc(lower)
s_addc_u32  s[sgprSrdD+1], s[sgprSrdD+1], 0        // incToNextRow: gra SRD += inc(upper)
_buffer_store_b32 v88, v70, s[sgprSrdD:sgprSrdD+3], 0, offen, offset:0 // store D
v_cvt_f16_f32 v[vgprValuC+90], v[vgprValuC+90]     // convert C to fp16
v_cvt_f16_f32 v[vgprValuC+91], v[vgprValuC+91]     // convert C to fp16
v_pack_b32_f16 v90, v[vgprValuC+90], v[vgprValuC+91] // Pack with neighbor
s_lshl_b32  s32, s[sgprStrideD1J], 1               // incToNextRow: Scale by BPE
s_add_u32  s[sgprSrdD+0], s[sgprSrdD+0], s32       // incToNextRow: gra SRD += inc(lower)
s_addc_u32  s[sgprSrdD+1], s[sgprSrdD+1], 0        // incToNextRow: gra SRD += inc(upper)
_buffer_store_b32 v90, v70, s[sgprSrdD:sgprSrdD+3], 0, offen, offset:0 // store D
v_cvt_f16_f32 v[vgprValuC+92], v[vgprValuC+92]     // convert C to fp16
v_cvt_f16_f32 v[vgprValuC+93], v[vgprValuC+93]     // convert C to fp16
v_pack_b32_f16 v92, v[vgprValuC+92], v[vgprValuC+93] // Pack with neighbor
s_lshl_b32  s32, s[sgprStrideD1J], 1               // incToNextRow: Scale by BPE
	;; [unrolled: 7-line block ×5, first 2 shown]
s_add_u32  s[sgprSrdD+0], s[sgprSrdD+0], s32       // incToNextRow: gra SRD += inc(lower)
s_addc_u32  s[sgprSrdD+1], s[sgprSrdD+1], 0        // incToNextRow: gra SRD += inc(upper)
_buffer_store_b32 v98, v70, s[sgprSrdD:sgprSrdD+3], 0, offen, offset:0 // store D
v_cvt_f16_f32 v[vgprValuC+100], v[vgprValuC+100]   // convert C to fp16
v_cvt_f16_f32 v[vgprValuC+101], v[vgprValuC+101]   // convert C to fp16
v_pack_b32_f16 v100, v[vgprValuC+100], v[vgprValuC+101] // Pack with neighbor
s_lshl_b32  s32, s[sgprStrideD1J], 1               // incToNextRow: Scale by BPE
s_add_u32  s[sgprSrdD+0], s[sgprSrdD+0], s32       // incToNextRow: gra SRD += inc(lower)
s_addc_u32  s[sgprSrdD+1], s[sgprSrdD+1], 0        // incToNextRow: gra SRD += inc(upper)
_buffer_store_b32 v100, v70, s[sgprSrdD:sgprSrdD+3], 0, offen, offset:0 // store D
v_cvt_f16_f32 v[vgprValuC+102], v[vgprValuC+102]   // convert C to fp16
v_cvt_f16_f32 v[vgprValuC+103], v[vgprValuC+103]   // convert C to fp16
v_pack_b32_f16 v102, v[vgprValuC+102], v[vgprValuC+103] // Pack with neighbor
s_lshl_b32  s32, s[sgprStrideD1J], 1               // incToNextRow: Scale by BPE
s_add_u32  s[sgprSrdD+0], s[sgprSrdD+0], s32       // incToNextRow: gra SRD += inc(lower)
s_addc_u32  s[sgprSrdD+1], s[sgprSrdD+1], 0        // incToNextRow: gra SRD += inc(upper)
_buffer_store_b32 v102, v70, s[sgprSrdD:sgprSrdD+3], 0, offen, offset:0 // store D
v_cvt_f16_f32 v[vgprValuC+104], v[vgprValuC+104]   // convert C to fp16
v_cvt_f16_f32 v[vgprValuC+105], v[vgprValuC+105]   // convert C to fp16
v_pack_b32_f16 v104, v[vgprValuC+104], v[vgprValuC+105] // Pack with neighbor
s_mul_i32 s32, s[sgprStrideD1J], 18                // scale StrideD *= numRows(9) * bpe
s_add_u32  s[sgprSrdD+0], s[sgprSrdD+0], s32       // incToNextRow: gra SRD += inc(lower)
s_addc_u32  s[sgprSrdD+1], s[sgprSrdD+1], 0        // incToNextRow: gra SRD += inc(upper)
_buffer_store_b32 v104, v70, s[sgprSrdD:sgprSrdD+3], 0, offen, offset:0 // store D
v_cvt_f16_f32 v[vgprValuC+106], v[vgprValuC+106]   // convert C to fp16
v_cvt_f16_f32 v[vgprValuC+107], v[vgprValuC+107]   // convert C to fp16
v_pack_b32_f16 v106, v[vgprValuC+106], v[vgprValuC+107] // Pack with neighbor
s_lshl_b32  s32, s[sgprStrideD1J], 1               // incToNextRow: Scale by BPE
s_add_u32  s[sgprSrdD+0], s[sgprSrdD+0], s32       // incToNextRow: gra SRD += inc(lower)
s_addc_u32  s[sgprSrdD+1], s[sgprSrdD+1], 0        // incToNextRow: gra SRD += inc(upper)
_buffer_store_b32 v106, v70, s[sgprSrdD:sgprSrdD+3], 0, offen, offset:0 // store D
v_cvt_f16_f32 v[vgprValuC+108], v[vgprValuC+108]   // convert C to fp16
v_cvt_f16_f32 v[vgprValuC+109], v[vgprValuC+109]   // convert C to fp16
v_pack_b32_f16 v108, v[vgprValuC+108], v[vgprValuC+109] // Pack with neighbor
s_lshl_b32  s32, s[sgprStrideD1J], 1               // incToNextRow: Scale by BPE
	;; [unrolled: 7-line block ×7, first 2 shown]
s_add_u32  s[sgprSrdD+0], s[sgprSrdD+0], s32       // incToNextRow: gra SRD += inc(lower)
s_addc_u32  s[sgprSrdD+1], s[sgprSrdD+1], 0        // incToNextRow: gra SRD += inc(upper)
_buffer_store_b32 v118, v70, s[sgprSrdD:sgprSrdD+3], 0, offen, offset:0 // store D
v_cvt_f16_f32 v[vgprValuC+120], v[vgprValuC+120]   // convert C to fp16
v_cvt_f16_f32 v[vgprValuC+121], v[vgprValuC+121]   // convert C to fp16
v_pack_b32_f16 v120, v[vgprValuC+120], v[vgprValuC+121] // Pack with neighbor
s_mul_i32 s32, s[sgprStrideD1J], 18                // scale StrideD *= numRows(9) * bpe
s_add_u32  s[sgprSrdD+0], s[sgprSrdD+0], s32       // incToNextRow: gra SRD += inc(lower)
s_addc_u32  s[sgprSrdD+1], s[sgprSrdD+1], 0        // incToNextRow: gra SRD += inc(upper)
_buffer_store_b32 v120, v70, s[sgprSrdD:sgprSrdD+3], 0, offen, offset:0 // store D
v_cvt_f16_f32 v[vgprValuC+122], v[vgprValuC+122]   // convert C to fp16
v_cvt_f16_f32 v[vgprValuC+123], v[vgprValuC+123]   // convert C to fp16
v_pack_b32_f16 v122, v[vgprValuC+122], v[vgprValuC+123] // Pack with neighbor
s_lshl_b32  s32, s[sgprStrideD1J], 1               // incToNextRow: Scale by BPE
s_add_u32  s[sgprSrdD+0], s[sgprSrdD+0], s32       // incToNextRow: gra SRD += inc(lower)
s_addc_u32  s[sgprSrdD+1], s[sgprSrdD+1], 0        // incToNextRow: gra SRD += inc(upper)
_buffer_store_b32 v122, v70, s[sgprSrdD:sgprSrdD+3], 0, offen, offset:0 // store D
v_cvt_f16_f32 v[vgprValuC+130], v[vgprValuC+130]   // convert C to fp16
v_cvt_f16_f32 v[vgprValuC+131], v[vgprValuC+131]   // convert C to fp16
v_pack_b32_f16 v130, v[vgprValuC+130], v[vgprValuC+131] // Pack with neighbor
s_lshl_b32  s32, s[sgprStrideD1J], 1               // incToNextRow: Scale by BPE
	;; [unrolled: 7-line block ×7, first 2 shown]
s_add_u32  s[sgprSrdD+0], s[sgprSrdD+0], s32       // incToNextRow: gra SRD += inc(lower)
s_addc_u32  s[sgprSrdD+1], s[sgprSrdD+1], 0        // incToNextRow: gra SRD += inc(upper)
_buffer_store_b32 v140, v70, s[sgprSrdD:sgprSrdD+3], 0, offen, offset:0 // store D
s_nop 0                                            // 1 wait state required when next inst writes vgprs held by previous dwordx4 store inst
s_branch label_GW_End_22                           // jump to end
label_GW_End_22:

s_endpgm                                           // Kernel End
OptNLL_End_16:


/******************************************/
/* Ord. NoLoadLoop - Begin                                      */
/******************************************/


	;; [unrolled: 1-line block ×4, first 2 shown]
/* iter 0 (last unrolled loop) */

/*  grEndMfmaIndex:0, lwStartMfmaIndex:11, lwEndMfmaIndex:11  */
/*  numMfmaForLR:2, barrierMfmaIndex:13, LocalWritePerMfma:5.000 */
/*  mfmaIndex:0  */
s_waitcnt lgkmcnt(0)                               // lgkmcnt=0 vmcnt=-1wait for prior local read local write old=0, new=0 newLW=0 newLR=0
/* pack scheduling: packAIdx:2, packBIdx:0 */
v_or_b32 v[vgprValuA_X0_I0+0], v[vgprValuA_X0_I0+0], v129 // pack two half Vgpr to one Vgpr
v_or_b32 v[vgprValuA_X0_I0+1], v[vgprValuA_X0_I0+1], v130 // pack two half Vgpr to one Vgpr
	;; [unrolled: 1-line block ×4, first 2 shown]
v_mfma_f32_32x32x8bf16_1k v[0+0:15+0], v[vgprValuB_X0_I0+0+0+0:vgprValuB_X0_I0+0+0+0+1], v[vgprValuA_X0_I0+0+0+0:vgprValuA_X0_I0+0+0+0+1], v[0:15]
/*  mfmaIndex:1  */
_ds_load_u16 v[vgprValuA_X1_I0+0], v[vgprLocalReadAddrA] offset:4096 // L -> Reg lro=2048 swapByteOffset=0 ti=256 vIdx=0 rIdx=0 oIdx=0 buffer=1 iui=0
_ds_load_u16_d16_hi v133, v[vgprLocalReadAddrA] offset:4608 // L -> Reg lro=2048 swapByteOffset=0 ti=256 vIdx=0 rIdx=1 oIdx=0 buffer=1 iui=0
_ds_load_u16 v[vgprValuA_X1_I0+1], v[vgprLocalReadAddrA] offset:5120 // L -> Reg lro=2048 swapByteOffset=0 ti=256 vIdx=0 rIdx=2 oIdx=0 buffer=1 iui=0
_ds_load_u16_d16_hi v134, v[vgprLocalReadAddrA] offset:5632 // L -> Reg lro=2048 swapByteOffset=0 ti=256 vIdx=0 rIdx=3 oIdx=0 buffer=1 iui=0
_ds_load_b64 v[vgprValuB_X1_I0+0:vgprValuB_X1_I0+0+1], v[vgprLocalReadAddrB] offset:16 // L -> Reg lro=8 swapByteOffset=0 ti=64 vIdx=0 rIdx=0 oIdx=0 buffer=1 iui=0
_ds_load_u16 v[vgprValuA_X1_I0+2], v[vgprLocalReadAddrA] offset:4098 // L -> Reg lro=2048 swapByteOffset=0 ti=256 vIdx=0 rIdx=0 oIdx=0 buffer=1 iui=0
v_mfma_f32_32x32x8bf16_1k v[16+0:31+0], v[vgprValuB_X0_I0+0+0+0:vgprValuB_X0_I0+0+0+0+1], v[vgprValuA_X0_I0+2+0+0:vgprValuA_X0_I0+2+0+0+1], v[16:31]
/*  mfmaIndex:2  */
_ds_load_u16_d16_hi v135, v[vgprLocalReadAddrA] offset:4610 // L -> Reg lro=2048 swapByteOffset=0 ti=256 vIdx=0 rIdx=1 oIdx=0 buffer=1 iui=0
_ds_load_u16 v[vgprValuA_X1_I0+3], v[vgprLocalReadAddrA] offset:5122 // L -> Reg lro=2048 swapByteOffset=0 ti=256 vIdx=0 rIdx=2 oIdx=0 buffer=1 iui=0
_ds_load_u16_d16_hi v136, v[vgprLocalReadAddrA] offset:5634 // L -> Reg lro=2048 swapByteOffset=0 ti=256 vIdx=0 rIdx=3 oIdx=0 buffer=1 iui=0
_ds_load_b64 v[vgprValuB_X1_I0+2:vgprValuB_X1_I0+2+1], v[vgprLocalReadAddrB] offset:80 // L -> Reg lro=8 swapByteOffset=0 ti=64 vIdx=0 rIdx=0 oIdx=0 buffer=1 iui=0
/* localReadsVacancy: latencyLeft 5 */
_ds_load_u16 v[vgprValuA_X2_I0+0], v[vgprLocalReadAddrA] offset:8192 // L -> Reg lro=4096 swapByteOffset=0 ti=256 vIdx=0 rIdx=0 oIdx=0 buffer=2 iui=0
_ds_load_u16 v[vgprValuA_X2_I0+1], v[vgprLocalReadAddrA] offset:9216 // L -> Reg lro=4096 swapByteOffset=0 ti=256 vIdx=0 rIdx=2 oIdx=0 buffer=2 iui=0
v_mfma_f32_32x32x8bf16_1k v[48+0:63+0], v[vgprValuB_X0_I0+2+0+0:vgprValuB_X0_I0+2+0+0+1], v[vgprValuA_X0_I0+2+0+0:vgprValuA_X0_I0+2+0+0+1], v[48:63]
/*  mfmaIndex:3  */
/* localReadsVacancy: latencyLeft 13 */
_ds_load_b64 v[vgprValuB_X2_I0+0:vgprValuB_X2_I0+0+1], v[vgprLocalReadAddrB] offset:32 // L -> Reg lro=16 swapByteOffset=0 ti=64 vIdx=0 rIdx=0 oIdx=0 buffer=2 iui=0
_ds_load_u16 v[vgprValuA_X2_I0+2], v[vgprLocalReadAddrA] offset:8194 // L -> Reg lro=4096 swapByteOffset=0 ti=256 vIdx=0 rIdx=0 oIdx=0 buffer=2 iui=0
_ds_load_u16 v[vgprValuA_X2_I0+3], v[vgprLocalReadAddrA] offset:9218 // L -> Reg lro=4096 swapByteOffset=0 ti=256 vIdx=0 rIdx=2 oIdx=0 buffer=2 iui=0
_ds_load_b64 v[vgprValuB_X2_I0+2:vgprValuB_X2_I0+2+1], v[vgprLocalReadAddrB] offset:96 // L -> Reg lro=16 swapByteOffset=0 ti=64 vIdx=0 rIdx=0 oIdx=0 buffer=2 iui=0
_ds_load_u16 v[vgprValuA_X3_I0+0], v[vgprLocalReadAddrA] offset:12288 // L -> Reg lro=6144 swapByteOffset=0 ti=256 vIdx=0 rIdx=0 oIdx=0 buffer=3 iui=0
_ds_load_u16 v[vgprValuA_X3_I0+1], v[vgprLocalReadAddrA] offset:13312 // L -> Reg lro=6144 swapByteOffset=0 ti=256 vIdx=0 rIdx=2 oIdx=0 buffer=3 iui=0
v_mfma_f32_32x32x8bf16_1k v[32+0:47+0], v[vgprValuB_X0_I0+2+0+0:vgprValuB_X0_I0+2+0+0+1], v[vgprValuA_X0_I0+0+0+0:vgprValuA_X0_I0+0+0+0+1], v[32:47]
/* numPrefetchIter=0 */
/* dataAtIterA=-1 numReadsIterA=1 skipReadsIterA=1 readsPerIterA=8 */
/* dataAtIterB=-1 numReadsIterB=1 skipReadsIterB=1 readsPerIterB=2 */


/* iter 1 (last unrolled loop) */

/*  grEndMfmaIndex:0, lwStartMfmaIndex:11, lwEndMfmaIndex:11  */
/*  numMfmaForLR:2, barrierMfmaIndex:13, LocalWritePerMfma:5.000 */
/*  mfmaIndex:4  */
_ds_load_u16_d16_hi v129, v[vgprLocalReadAddrA] offset:8704 // L -> Reg lro=4096 swapByteOffset=0 ti=256 vIdx=0 rIdx=1 oIdx=0 buffer=2 iui=0
_ds_load_u16_d16_hi v130, v[vgprLocalReadAddrA] offset:9728 // L -> Reg lro=4096 swapByteOffset=0 ti=256 vIdx=0 rIdx=3 oIdx=0 buffer=2 iui=0
	;; [unrolled: 1-line block ×4, first 2 shown]
/* localReadsVacancy: latencyLeft 5 */
_ds_load_b64 v[vgprValuB_X3_I0+0:vgprValuB_X3_I0+0+1], v[vgprLocalReadAddrB] offset:48 // L -> Reg lro=24 swapByteOffset=0 ti=64 vIdx=0 rIdx=0 oIdx=0 buffer=3 iui=0
_ds_load_u16 v[vgprValuA_X3_I0+2], v[vgprLocalReadAddrA] offset:12290 // L -> Reg lro=6144 swapByteOffset=0 ti=256 vIdx=0 rIdx=0 oIdx=0 buffer=3 iui=0
s_waitcnt lgkmcnt(14)                              // lgkmcnt=0 vmcnt=-1wait for prior local read local write old=6, new=10 newLW=0 newLR=4
/* pack scheduling: packAIdx:2, packBIdx:0 */
v_or_b32 v[vgprValuA_X1_I0+0], v[vgprValuA_X1_I0+0], v133 // pack two half Vgpr to one Vgpr
v_or_b32 v[vgprValuA_X1_I0+1], v[vgprValuA_X1_I0+1], v134 // pack two half Vgpr to one Vgpr
	;; [unrolled: 1-line block ×4, first 2 shown]
v_mfma_f32_32x32x8bf16_1k v[0+0:15+0], v[vgprValuB_X1_I0+0+0+0:vgprValuB_X1_I0+0+0+0+1], v[vgprValuA_X1_I0+0+0+0:vgprValuA_X1_I0+0+0+0+1], v[0:15]
/*  mfmaIndex:5  */
/* localReadsVacancy: latencyLeft 13 */
_ds_load_u16 v[vgprValuA_X3_I0+3], v[vgprLocalReadAddrA] offset:13314 // L -> Reg lro=6144 swapByteOffset=0 ti=256 vIdx=0 rIdx=2 oIdx=0 buffer=3 iui=0
_ds_load_b64 v[vgprValuB_X3_I0+2:vgprValuB_X3_I0+2+1], v[vgprLocalReadAddrB] offset:112 // L -> Reg lro=24 swapByteOffset=0 ti=64 vIdx=0 rIdx=0 oIdx=0 buffer=3 iui=0
v_mfma_f32_32x32x8bf16_1k v[16+0:31+0], v[vgprValuB_X1_I0+0+0+0:vgprValuB_X1_I0+0+0+0+1], v[vgprValuA_X1_I0+2+0+0:vgprValuA_X1_I0+2+0+0+1], v[16:31]
/*  mfmaIndex:6  */
/* localReadsVacancy: latencyLeft 13 */
v_mfma_f32_32x32x8bf16_1k v[48+0:63+0], v[vgprValuB_X1_I0+2+0+0:vgprValuB_X1_I0+2+0+0+1], v[vgprValuA_X1_I0+2+0+0:vgprValuA_X1_I0+2+0+0+1], v[48:63]
/*  mfmaIndex:7  */
/* localReadsVacancy: latencyLeft 13 */
v_mfma_f32_32x32x8bf16_1k v[32+0:47+0], v[vgprValuB_X1_I0+2+0+0:vgprValuB_X1_I0+2+0+0+1], v[vgprValuA_X1_I0+0+0+0:vgprValuA_X1_I0+0+0+0+1], v[32:47]
/* numPrefetchIter=0 */
/* dataAtIterA=0 numReadsIterA=2 skipReadsIterA=1 readsPerIterA=8 */
/* dataAtIterB=0 numReadsIterB=2 skipReadsIterB=1 readsPerIterB=2 */


/* iter 2 (last unrolled loop) */

/*  grEndMfmaIndex:0, lwStartMfmaIndex:11, lwEndMfmaIndex:11  */
/*  numMfmaForLR:2, barrierMfmaIndex:13, LocalWritePerMfma:5.000 */
/*  mfmaIndex:8  */
_ds_load_u16_d16_hi v133, v[vgprLocalReadAddrA] offset:12800 // L -> Reg lro=6144 swapByteOffset=0 ti=256 vIdx=0 rIdx=1 oIdx=0 buffer=3 iui=0
_ds_load_u16_d16_hi v134, v[vgprLocalReadAddrA] offset:13824 // L -> Reg lro=6144 swapByteOffset=0 ti=256 vIdx=0 rIdx=3 oIdx=0 buffer=3 iui=0
	;; [unrolled: 1-line block ×4, first 2 shown]
/* localReadsVacancy: latencyLeft 5 */
s_waitcnt lgkmcnt(8)                               // lgkmcnt=0 vmcnt=-1wait for prior local read local write old=4, new=8 newLW=0 newLR=4
/* pack scheduling: packAIdx:2, packBIdx:0 */
v_or_b32 v[vgprValuA_X2_I0+0], v[vgprValuA_X2_I0+0], v129 // pack two half Vgpr to one Vgpr
v_or_b32 v[vgprValuA_X2_I0+1], v[vgprValuA_X2_I0+1], v130 // pack two half Vgpr to one Vgpr
	;; [unrolled: 1-line block ×4, first 2 shown]
v_mfma_f32_32x32x8bf16_1k v[0+0:15+0], v[vgprValuB_X2_I0+0+0+0:vgprValuB_X2_I0+0+0+0+1], v[vgprValuA_X2_I0+0+0+0:vgprValuA_X2_I0+0+0+0+1], v[0:15]
/*  mfmaIndex:9  */
/* localReadsVacancy: latencyLeft 13 */
v_mfma_f32_32x32x8bf16_1k v[16+0:31+0], v[vgprValuB_X2_I0+0+0+0:vgprValuB_X2_I0+0+0+0+1], v[vgprValuA_X2_I0+2+0+0:vgprValuA_X2_I0+2+0+0+1], v[16:31]
/*  mfmaIndex:10  */
/* localReadsVacancy: latencyLeft 13 */
/* 1 LDS buffer: read-sync-write */
s_waitcnt lgkmcnt(0)                               // 
s_barrier                                          // 
v_mfma_f32_32x32x8bf16_1k v[48+0:63+0], v[vgprValuB_X2_I0+2+0+0:vgprValuB_X2_I0+2+0+0+1], v[vgprValuA_X2_I0+2+0+0:vgprValuA_X2_I0+2+0+0+1], v[48:63]
/*  mfmaIndex:11  */
/* localReadsVacancy: latencyLeft 13 */
v_mfma_f32_32x32x8bf16_1k v[32+0:47+0], v[vgprValuB_X2_I0+2+0+0:vgprValuB_X2_I0+2+0+0+1], v[vgprValuA_X2_I0+0+0+0:vgprValuA_X2_I0+0+0+0+1], v[32:47]
/* numPrefetchIter=0 */
/* dataAtIterA=1 numReadsIterA=3 skipReadsIterA=1 readsPerIterA=8 */
/* dataAtIterB=1 numReadsIterB=3 skipReadsIterB=1 readsPerIterB=2 */


/* iter 3 (last unrolled loop) */

/*  grEndMfmaIndex:0, lwStartMfmaIndex:11, lwEndMfmaIndex:11  */
/*  numMfmaForLR:2, barrierMfmaIndex:13, LocalWritePerMfma:5.000 */
/*  mfmaIndex:12  */
/* pack scheduling: packAIdx:2, packBIdx:0 */
v_or_b32 v[vgprValuA_X3_I0+0], v[vgprValuA_X3_I0+0], v133 // pack two half Vgpr to one Vgpr
v_or_b32 v[vgprValuA_X3_I0+1], v[vgprValuA_X3_I0+1], v134 // pack two half Vgpr to one Vgpr
	;; [unrolled: 1-line block ×4, first 2 shown]
v_mfma_f32_32x32x8bf16_1k v[0+0:15+0], v[vgprValuB_X3_I0+0+0+0:vgprValuB_X3_I0+0+0+0+1], v[vgprValuA_X3_I0+0+0+0:vgprValuA_X3_I0+0+0+0+1], v[0:15]
/*  mfmaIndex:13  */
v_mfma_f32_32x32x8bf16_1k v[16+0:31+0], v[vgprValuB_X3_I0+0+0+0:vgprValuB_X3_I0+0+0+0+1], v[vgprValuA_X3_I0+2+0+0:vgprValuA_X3_I0+2+0+0+1], v[16:31]
/*  mfmaIndex:14  */
	;; [unrolled: 2-line block ×3, first 2 shown]
v_mfma_f32_32x32x8bf16_1k v[32+0:47+0], v[vgprValuB_X3_I0+2+0+0:vgprValuB_X3_I0+2+0+0+1], v[vgprValuA_X3_I0+0+0+0:vgprValuA_X3_I0+0+0+0+1], v[32:47]

PrefetchGlobalLastIterEnd_5:


/******************************************/
/* Tail Loop                              */
/******************************************/


/* local write reset offsets a */


	;; [unrolled: 1-line block ×3, first 2 shown]
/* local write reset offsets b */


	;; [unrolled: 1-line block ×3, first 2 shown]
//numIterL = (((sizeL % LOCAL_DEPTHU) + LOCAL_SPLITU - 1) / LOCAL_SPLITU)
s_and_b32 s[sgprLoopCounterL], 31, s[sgprSizesSum+0] // s[sgprLoopCounterL] = s[sgprSizesSum+0] % 32
s_cmp_eq_u32 s[sgprLoopCounterL], 0x0              // numIterL == 0
s_cbranch_scc1 SkipTailLoopL_8                     // skip to end of tail loop b/c numIter==0
s_mov_b32 s[sgprOrigLoopCounter], 0                // repurpose to count each localRead increment


/* Update M0 for DTLDS */


	;; [unrolled: 1-line block ×3, first 2 shown]
/* global read a */

/* g2l=0, load component 0 */
_buffer_load_d16_b16 v[vgprG2LA+0+0], v[vgprGlobalReadOffsetA+0], s[sgprSrdA:sgprSrdA+3], 0, offen offset:0 // load one buffer value
/* g2l=0, load component 1 */
_buffer_load_d16_hi_b16 v129, v[vgprGlobalReadOffsetA+0], s[sgprSrdA:sgprSrdA+3], 0, offen offset:2 // load one buffer value
s_waitcnt vmcnt(0)
v_or_b32 v[vgprG2LA+0+0], v[vgprG2LA+0+0], v129 // HasEccHalf: pack
/* g2l=0, load component 2 */
_buffer_load_d16_b16 v[vgprG2LA+0+1], v[vgprGlobalReadOffsetA+0], s[sgprSrdA:sgprSrdA+3], 0, offen offset:4 // load one buffer value
/* g2l=0, load component 3 */
_buffer_load_d16_hi_b16 v129, v[vgprGlobalReadOffsetA+0], s[sgprSrdA:sgprSrdA+3], 0, offen offset:6 // load one buffer value
s_waitcnt vmcnt(0)
v_or_b32 v[vgprG2LA+0+1], v[vgprG2LA+0+1], v129 // HasEccHalf: pack
	;; [unrolled: 6-line block ×16, first 2 shown]


/* Update M0 for DTLDS */


	;; [unrolled: 1-line block ×3, first 2 shown]
/* global read b */

/* g2l=0, load component 0 */
_buffer_load_d16_b16 v[vgprG2LB+0+0], v[vgprGlobalReadOffsetB+0], s[sgprSrdB:sgprSrdB+3], 0, offen offset:0 // load one buffer value
/* g2l=0, load component 1 */
_buffer_load_d16_hi_b16 v129, v[vgprGlobalReadOffsetB+0], s[sgprSrdB:sgprSrdB+3], 0, offen offset:2 // load one buffer value
s_waitcnt vmcnt(0)
v_or_b32 v[vgprG2LB+0+0], v[vgprG2LB+0+0], v129 // HasEccHalf: pack
/* g2l=0, load component 2 */
_buffer_load_d16_b16 v[vgprG2LB+0+1], v[vgprGlobalReadOffsetB+0], s[sgprSrdB:sgprSrdB+3], 0, offen offset:4 // load one buffer value
/* g2l=0, load component 3 */
_buffer_load_d16_hi_b16 v129, v[vgprGlobalReadOffsetB+0], s[sgprSrdB:sgprSrdB+3], 0, offen offset:6 // load one buffer value
s_waitcnt vmcnt(0)
v_or_b32 v[vgprG2LB+0+1], v[vgprG2LB+0+1], v129 // HasEccHalf: pack
	;; [unrolled: 6-line block ×4, first 2 shown]

s_waitcnt vmcnt(0)                                 // lgkmcnt=-1 vmcnt=02wait for global read

// Skip force waitcnt0
s_barrier //


/* Done global A/B reads */


	;; [unrolled: 1-line block ×4, first 2 shown]
/* local write a */

v_cvt_f32_f16 v[vgprG2Lpipe0], v[vgprG2LA+0]       // 
v_cvt_f32_f16 v[vgprG2Lpipe1], v[vgprG2LA+0], src0_sel:WORD_1 // 
v_pack_b32_f16 v[vgprG2LA+0], v[vgprG2Lpipe0], v[vgprG2Lpipe1], op_sel:[1,1,0] // 
v_cvt_f32_f16 v[vgprG2Lpipe0], v[vgprG2LA+1]       // 
v_cvt_f32_f16 v[vgprG2Lpipe1], v[vgprG2LA+1], src0_sel:WORD_1 // 
v_pack_b32_f16 v[vgprG2LA+1], v[vgprG2Lpipe0], v[vgprG2Lpipe1], op_sel:[1,1,0] // 
	;; [unrolled: 3-line block ×4, first 2 shown]
_ds_store_b128 v[vgprLocalWriteAddrA], v[vgprG2LA+0:vgprG2LA+0+3] offset:0 // lwoA_0_0_0_0 = (0*LSCA) + (0*LSPA)(*MT0I+PAD) = 0
v_cvt_f32_f16 v[vgprG2Lpipe0], v[vgprG2LA+4]       // 
v_cvt_f32_f16 v[vgprG2Lpipe1], v[vgprG2LA+4], src0_sel:WORD_1 // 
v_pack_b32_f16 v[vgprG2LA+4], v[vgprG2Lpipe0], v[vgprG2Lpipe1], op_sel:[1,1,0] // 
v_cvt_f32_f16 v[vgprG2Lpipe0], v[vgprG2LA+5]       // 
v_cvt_f32_f16 v[vgprG2Lpipe1], v[vgprG2LA+5], src0_sel:WORD_1 // 
v_pack_b32_f16 v[vgprG2LA+5], v[vgprG2Lpipe0], v[vgprG2Lpipe1], op_sel:[1,1,0] // 
	;; [unrolled: 3-line block ×4, first 2 shown]
_ds_store_b128 v[vgprLocalWriteAddrA], v[vgprG2LA+4:vgprG2LA+4+3] offset:4096 // lwoA_0_0_1_0 = (0*LSCA) + (1*LSPA)(*MT0I+PAD) = 4096
v_cvt_f32_f16 v[vgprG2Lpipe0], v[vgprG2LA+8]       // 
v_cvt_f32_f16 v[vgprG2Lpipe1], v[vgprG2LA+8], src0_sel:WORD_1 // 
v_pack_b32_f16 v[vgprG2LA+8], v[vgprG2Lpipe0], v[vgprG2Lpipe1], op_sel:[1,1,0] // 
v_cvt_f32_f16 v[vgprG2Lpipe0], v[vgprG2LA+9]       // 
v_cvt_f32_f16 v[vgprG2Lpipe1], v[vgprG2LA+9], src0_sel:WORD_1 // 
v_pack_b32_f16 v[vgprG2LA+9], v[vgprG2Lpipe0], v[vgprG2Lpipe1], op_sel:[1,1,0] // 
v_cvt_f32_f16 v[vgprG2Lpipe0], v[vgprG2LA+10]      // 
v_cvt_f32_f16 v[vgprG2Lpipe1], v[vgprG2LA+10], src0_sel:WORD_1 // 
v_pack_b32_f16 v[vgprG2LA+10], v[vgprG2Lpipe0], v[vgprG2Lpipe1], op_sel:[1,1,0] // 
v_cvt_f32_f16 v[vgprG2Lpipe0], v[vgprG2LA+11]      // 
v_cvt_f32_f16 v[vgprG2Lpipe1], v[vgprG2LA+11], src0_sel:WORD_1 // 
v_pack_b32_f16 v[vgprG2LA+11], v[vgprG2Lpipe0], v[vgprG2Lpipe1], op_sel:[1,1,0] // 
_ds_store_b128 v[vgprLocalWriteAddrA], v[vgprG2LA+8:vgprG2LA+8+3] offset:8192 // lwoA_0_0_2_0 = (0*LSCA) + (2*LSPA)(*MT0I+PAD) = 8192
v_cvt_f32_f16 v[vgprG2Lpipe0], v[vgprG2LA+12]      // 
v_cvt_f32_f16 v[vgprG2Lpipe1], v[vgprG2LA+12], src0_sel:WORD_1 // 
v_pack_b32_f16 v[vgprG2LA+12], v[vgprG2Lpipe0], v[vgprG2Lpipe1], op_sel:[1,1,0] // 
v_cvt_f32_f16 v[vgprG2Lpipe0], v[vgprG2LA+13]      // 
v_cvt_f32_f16 v[vgprG2Lpipe1], v[vgprG2LA+13], src0_sel:WORD_1 // 
v_pack_b32_f16 v[vgprG2LA+13], v[vgprG2Lpipe0], v[vgprG2Lpipe1], op_sel:[1,1,0] // 
	;; [unrolled: 3-line block ×4, first 2 shown]
_ds_store_b128 v[vgprLocalWriteAddrA], v[vgprG2LA+12:vgprG2LA+12+3] offset:12288 // lwoA_0_0_3_0 = (0*LSCA) + (3*LSPA)(*MT0I+PAD) = 12288


/* local write b */

v_cvt_f32_f16 v[vgprG2Lpipe0], v[vgprG2LB+0]       // 
v_cvt_f32_f16 v[vgprG2Lpipe1], v[vgprG2LB+0], src0_sel:WORD_1 // 
v_pack_b32_f16 v[vgprG2LB+0], v[vgprG2Lpipe0], v[vgprG2Lpipe1], op_sel:[1,1,0] // 
v_cvt_f32_f16 v[vgprG2Lpipe0], v[vgprG2LB+1]       // 
v_cvt_f32_f16 v[vgprG2Lpipe1], v[vgprG2LB+1], src0_sel:WORD_1 // 
v_pack_b32_f16 v[vgprG2LB+1], v[vgprG2Lpipe0], v[vgprG2Lpipe1], op_sel:[1,1,0] // 
	;; [unrolled: 3-line block ×4, first 2 shown]
_ds_store_b128 v[vgprLocalWriteAddrB], v[vgprG2LB+0:vgprG2LB+0+3] offset:0 // lwoB_0_0_0_0 = (0*LSCB)*(MT1J+PAD) + (0*LSPB) = 0


/* Recalc local read offsets */


s_waitcnt lgkmcnt(0)                               // lgkmcnt=0 vmcnt=-15wait for local write

// Skip force waitcnt0
s_barrier //


/* local read reset offsets a */


	;; [unrolled: 1-line block ×3, first 2 shown]
/* local read reset offsets b */


	;; [unrolled: 1-line block ×3, first 2 shown]
/* local read init pointers a */


/* localReadInitPointers */


/* local read init pointers b */


/* localReadInitPointers */


/* tail loop: macs */

TailLoopBeginL_6:


/* tail loop unroll iter 0 */


/* local read a */

_ds_load_u16 v[vgprValuA_X0_I0+0], v[vgprLocalReadAddrA] offset:0 // L -> Reg lro=0 swapByteOffset=0 ti=256 vIdx=0 rIdx=0 oIdx=0 buffer=0 iui=0
_ds_load_u16_d16_hi v129, v[vgprLocalReadAddrA] offset:512 // L -> Reg lro=0 swapByteOffset=0 ti=256 vIdx=0 rIdx=1 oIdx=0 buffer=0 iui=0
_ds_load_u16 v[vgprValuA_X0_I0+1], v[vgprLocalReadAddrA] offset:1024 // L -> Reg lro=0 swapByteOffset=0 ti=256 vIdx=0 rIdx=2 oIdx=0 buffer=0 iui=0
_ds_load_u16_d16_hi v130, v[vgprLocalReadAddrA] offset:1536 // L -> Reg lro=0 swapByteOffset=0 ti=256 vIdx=0 rIdx=3 oIdx=0 buffer=0 iui=0
	;; [unrolled: 2-line block ×4, first 2 shown]


/* local read b */

_ds_load_b64 v[vgprValuB_X0_I0+0:vgprValuB_X0_I0+0+1], v[vgprLocalReadAddrB] offset:0 // L -> Reg lro=0 swapByteOffset=0 ti=64 vIdx=0 rIdx=0 oIdx=0 buffer=0 iui=0
_ds_load_b64 v[vgprValuB_X0_I0+2:vgprValuB_X0_I0+2+1], v[vgprLocalReadAddrB] offset:64 // L -> Reg lro=0 swapByteOffset=0 ti=64 vIdx=0 rIdx=0 oIdx=0 buffer=0 iui=0


/* local read inc a */

s_mov_b32 s31, 0x1000                              // inc
_v_add_co_u32 v[vgprLocalReadAddrA], vcc, s31, v[vgprLocalReadAddrA] // lrA += 4096 (LSU*(MT+PAD)*bpe)


/* local read inc b */

s_mov_b32 s31, 0x10                                // inc
_v_add_co_u32 v[vgprLocalReadAddrB], vcc, s31, v[vgprLocalReadAddrB] // lrB += 16 (LSU*bpe)

s_waitcnt lgkmcnt(0)                               // lgkmcnt=0 vmcnt=-14wait for local read

v_or_b32 v[vgprValuA_X0_I0+0], v[vgprValuA_X0_I0+0], v129 // pack two half Vgpr to one Vgpr
v_or_b32 v[vgprValuA_X0_I0+1], v[vgprValuA_X0_I0+1], v130 // pack two half Vgpr to one Vgpr
	;; [unrolled: 1-line block ×4, first 2 shown]


/* tail loop mfma iter 0: numReadsIterCoalescedA=1, numReadsIterCoalescedB=1 */
v_and_b32 v129, 63, v[vgprSerial]                  // v129 = v[vgprSerial] % 64
v_lshrrev_b32 v129, 5, v129                        // v129 = v129 / 32
v_lshlrev_b32 v129, 0x2, v129                      // v129 = v129 * 4
v_cmp_ge_i32 s[32:33], v129, s[sgprLoopCounterL]   // check K index >= Size L
v_cndmask_b32 v[vgprValuB_X0_I0+0+0+0+0], v[vgprValuB_X0_I0+0+0+0+0], 0x0, s[32:33] // set 0 if K_idx >= sizeL
v_cndmask_b32 v[vgprValuB_X0_I0+2+0+0+0], v[vgprValuB_X0_I0+2+0+0+0], 0x0, s[32:33] // set 0 if K_idx >= sizeL
	;; [unrolled: 1-line block ×4, first 2 shown]
_v_sub_u32 v129, s[sgprLoopCounterL], v129         // get distance between size and k index
v_cmp_lt_i32 s[32:33], v129, 4                     // set partial 0 if distance less than input per thread
s_and_b32 s34, s[sgprLoopCounterL], 3              // get inputs for edge thread
s_sub_u32 s34, 4, s34                              // use shift to fill 0 for outside element
s_lshl_b32 s34, s34, 4                             // use shift to fill 0 for outside element
v_mov_b32 v130, -1                                 // set 0xffffffff
v_mov_b32 v131, -1                                 // set 0xffffffff
v_lshrrev_b64 v[130:131], s34, v[130:131]          // rshift mask for partial k
v_cndmask_b32 v130, -1, v130, s[32:33]             // select shifted mask for partial k
v_cndmask_b32 v131, -1, v131, s[32:33]             // select shifted mask for partial k
v_and_b32 v[vgprValuB_X0_I0+0+0+0+0], v[vgprValuB_X0_I0+0+0+0+0], v130 // 
v_and_b32 v[vgprValuB_X0_I0+0+0+0+1], v[vgprValuB_X0_I0+0+0+0+1], v131 // 
	;; [unrolled: 1-line block ×4, first 2 shown]
s_nop 1
v_mfma_f32_32x32x8bf16_1k v[0+0:15+0], v[vgprValuB_X0_I0+0+0+0:vgprValuB_X0_I0+0+0+0+1], v[vgprValuA_X0_I0+0+0+0:vgprValuA_X0_I0+0+0+0+1], v[0:15]
v_mfma_f32_32x32x8bf16_1k v[16+0:31+0], v[vgprValuB_X0_I0+0+0+0:vgprValuB_X0_I0+0+0+0+1], v[vgprValuA_X0_I0+2+0+0:vgprValuA_X0_I0+2+0+0+1], v[16:31]
	;; [unrolled: 1-line block ×4, first 2 shown]


/* closeLoop loopL finalLoop=0 tailLoop=1 */
s_sub_i32 s[sgprLoopCounterL], s[sgprLoopCounterL], 0x8 // dec counterL (tailLoop)
s_add_u32 s[sgprOrigLoopCounter], s[sgprOrigLoopCounter], 0x8 // inc counterL
s_cmp_le_i32 s[sgprLoopCounterL], 0x0              // counterL<=0
s_cbranch_scc1 TailLoopEndL_7                      // exit LoopL


/* tail loop unroll iter 1 */


/* local read a */

_ds_load_u16 v[vgprValuA_X1_I0+0], v[vgprLocalReadAddrA] offset:0 // L -> Reg lro=0 swapByteOffset=0 ti=256 vIdx=0 rIdx=0 oIdx=0 buffer=1 iui=0
_ds_load_u16_d16_hi v129, v[vgprLocalReadAddrA] offset:512 // L -> Reg lro=0 swapByteOffset=0 ti=256 vIdx=0 rIdx=1 oIdx=0 buffer=1 iui=0
_ds_load_u16 v[vgprValuA_X1_I0+1], v[vgprLocalReadAddrA] offset:1024 // L -> Reg lro=0 swapByteOffset=0 ti=256 vIdx=0 rIdx=2 oIdx=0 buffer=1 iui=0
_ds_load_u16_d16_hi v130, v[vgprLocalReadAddrA] offset:1536 // L -> Reg lro=0 swapByteOffset=0 ti=256 vIdx=0 rIdx=3 oIdx=0 buffer=1 iui=0
	;; [unrolled: 2-line block ×4, first 2 shown]


/* local read b */

_ds_load_b64 v[vgprValuB_X1_I0+0:vgprValuB_X1_I0+0+1], v[vgprLocalReadAddrB] offset:0 // L -> Reg lro=0 swapByteOffset=0 ti=64 vIdx=0 rIdx=0 oIdx=0 buffer=1 iui=0
_ds_load_b64 v[vgprValuB_X1_I0+2:vgprValuB_X1_I0+2+1], v[vgprLocalReadAddrB] offset:64 // L -> Reg lro=0 swapByteOffset=0 ti=64 vIdx=0 rIdx=0 oIdx=0 buffer=1 iui=0


/* local read inc a */

s_mov_b32 s31, 0x1000                              // inc
_v_add_co_u32 v[vgprLocalReadAddrA], vcc, s31, v[vgprLocalReadAddrA] // lrA += 4096 (LSU*(MT+PAD)*bpe)


/* local read inc b */

s_mov_b32 s31, 0x10                                // inc
_v_add_co_u32 v[vgprLocalReadAddrB], vcc, s31, v[vgprLocalReadAddrB] // lrB += 16 (LSU*bpe)

s_waitcnt lgkmcnt(0)                               // lgkmcnt=0 vmcnt=-14wait for local read

v_or_b32 v[vgprValuA_X1_I0+0], v[vgprValuA_X1_I0+0], v129 // pack two half Vgpr to one Vgpr
v_or_b32 v[vgprValuA_X1_I0+1], v[vgprValuA_X1_I0+1], v130 // pack two half Vgpr to one Vgpr
	;; [unrolled: 1-line block ×4, first 2 shown]


/* tail loop mfma iter 1: numReadsIterCoalescedA=1, numReadsIterCoalescedB=1 */
v_and_b32 v129, 63, v[vgprSerial]                  // v129 = v[vgprSerial] % 64
v_lshrrev_b32 v129, 5, v129                        // v129 = v129 / 32
v_lshlrev_b32 v129, 0x2, v129                      // v129 = v129 * 4
v_cmp_ge_i32 s[32:33], v129, s[sgprLoopCounterL]   // check K index >= Size L
v_cndmask_b32 v[vgprValuB_X1_I0+0+0+0+0], v[vgprValuB_X1_I0+0+0+0+0], 0x0, s[32:33] // set 0 if K_idx >= sizeL
v_cndmask_b32 v[vgprValuB_X1_I0+2+0+0+0], v[vgprValuB_X1_I0+2+0+0+0], 0x0, s[32:33] // set 0 if K_idx >= sizeL
v_cndmask_b32 v[vgprValuB_X1_I0+0+0+0+1], v[vgprValuB_X1_I0+0+0+0+1], 0x0, s[32:33] // set 0 if K_idx >= sizeL
v_cndmask_b32 v[vgprValuB_X1_I0+2+0+0+1], v[vgprValuB_X1_I0+2+0+0+1], 0x0, s[32:33] // set 0 if K_idx >= sizeL
_v_sub_u32 v129, s[sgprLoopCounterL], v129         // get distance between size and k index
v_cmp_lt_i32 s[32:33], v129, 4                     // set partial 0 if distance less than input per thread
s_and_b32 s34, s[sgprLoopCounterL], 3              // get inputs for edge thread
s_sub_u32 s34, 4, s34                              // use shift to fill 0 for outside element
s_lshl_b32 s34, s34, 4                             // use shift to fill 0 for outside element
v_mov_b32 v130, -1                                 // set 0xffffffff
v_mov_b32 v131, -1                                 // set 0xffffffff
v_lshrrev_b64 v[130:131], s34, v[130:131]          // rshift mask for partial k
v_cndmask_b32 v130, -1, v130, s[32:33]             // select shifted mask for partial k
v_cndmask_b32 v131, -1, v131, s[32:33]             // select shifted mask for partial k
v_and_b32 v[vgprValuB_X1_I0+0+0+0+0], v[vgprValuB_X1_I0+0+0+0+0], v130 // 
v_and_b32 v[vgprValuB_X1_I0+0+0+0+1], v[vgprValuB_X1_I0+0+0+0+1], v131 // 
	;; [unrolled: 1-line block ×4, first 2 shown]
s_nop 1
v_mfma_f32_32x32x8bf16_1k v[0+0:15+0], v[vgprValuB_X1_I0+0+0+0:vgprValuB_X1_I0+0+0+0+1], v[vgprValuA_X1_I0+0+0+0:vgprValuA_X1_I0+0+0+0+1], v[0:15]
v_mfma_f32_32x32x8bf16_1k v[16+0:31+0], v[vgprValuB_X1_I0+0+0+0:vgprValuB_X1_I0+0+0+0+1], v[vgprValuA_X1_I0+2+0+0:vgprValuA_X1_I0+2+0+0+1], v[16:31]
	;; [unrolled: 1-line block ×4, first 2 shown]


/* closeLoop loopL finalLoop=0 tailLoop=1 */
s_sub_i32 s[sgprLoopCounterL], s[sgprLoopCounterL], 0x8 // dec counterL (tailLoop)
s_add_u32 s[sgprOrigLoopCounter], s[sgprOrigLoopCounter], 0x8 // inc counterL
s_cmp_le_i32 s[sgprLoopCounterL], 0x0              // counterL<=0
s_cbranch_scc1 TailLoopEndL_7                      // exit LoopL


/* tail loop unroll iter 2 */


/* local read a */

_ds_load_u16 v[vgprValuA_X2_I0+0], v[vgprLocalReadAddrA] offset:0 // L -> Reg lro=0 swapByteOffset=0 ti=256 vIdx=0 rIdx=0 oIdx=0 buffer=2 iui=0
_ds_load_u16_d16_hi v129, v[vgprLocalReadAddrA] offset:512 // L -> Reg lro=0 swapByteOffset=0 ti=256 vIdx=0 rIdx=1 oIdx=0 buffer=2 iui=0
_ds_load_u16 v[vgprValuA_X2_I0+1], v[vgprLocalReadAddrA] offset:1024 // L -> Reg lro=0 swapByteOffset=0 ti=256 vIdx=0 rIdx=2 oIdx=0 buffer=2 iui=0
_ds_load_u16_d16_hi v130, v[vgprLocalReadAddrA] offset:1536 // L -> Reg lro=0 swapByteOffset=0 ti=256 vIdx=0 rIdx=3 oIdx=0 buffer=2 iui=0
	;; [unrolled: 2-line block ×4, first 2 shown]


/* local read b */

_ds_load_b64 v[vgprValuB_X2_I0+0:vgprValuB_X2_I0+0+1], v[vgprLocalReadAddrB] offset:0 // L -> Reg lro=0 swapByteOffset=0 ti=64 vIdx=0 rIdx=0 oIdx=0 buffer=2 iui=0
_ds_load_b64 v[vgprValuB_X2_I0+2:vgprValuB_X2_I0+2+1], v[vgprLocalReadAddrB] offset:64 // L -> Reg lro=0 swapByteOffset=0 ti=64 vIdx=0 rIdx=0 oIdx=0 buffer=2 iui=0


/* local read inc a */

s_mov_b32 s31, 0x1000                              // inc
_v_add_co_u32 v[vgprLocalReadAddrA], vcc, s31, v[vgprLocalReadAddrA] // lrA += 4096 (LSU*(MT+PAD)*bpe)


/* local read inc b */

s_mov_b32 s31, 0x10                                // inc
_v_add_co_u32 v[vgprLocalReadAddrB], vcc, s31, v[vgprLocalReadAddrB] // lrB += 16 (LSU*bpe)

s_waitcnt lgkmcnt(0)                               // lgkmcnt=0 vmcnt=-14wait for local read

v_or_b32 v[vgprValuA_X2_I0+0], v[vgprValuA_X2_I0+0], v129 // pack two half Vgpr to one Vgpr
v_or_b32 v[vgprValuA_X2_I0+1], v[vgprValuA_X2_I0+1], v130 // pack two half Vgpr to one Vgpr
	;; [unrolled: 1-line block ×4, first 2 shown]


/* tail loop mfma iter 2: numReadsIterCoalescedA=1, numReadsIterCoalescedB=1 */
v_and_b32 v129, 63, v[vgprSerial]                  // v129 = v[vgprSerial] % 64
v_lshrrev_b32 v129, 5, v129                        // v129 = v129 / 32
v_lshlrev_b32 v129, 0x2, v129                      // v129 = v129 * 4
v_cmp_ge_i32 s[32:33], v129, s[sgprLoopCounterL]   // check K index >= Size L
v_cndmask_b32 v[vgprValuB_X2_I0+0+0+0+0], v[vgprValuB_X2_I0+0+0+0+0], 0x0, s[32:33] // set 0 if K_idx >= sizeL
v_cndmask_b32 v[vgprValuB_X2_I0+2+0+0+0], v[vgprValuB_X2_I0+2+0+0+0], 0x0, s[32:33] // set 0 if K_idx >= sizeL
	;; [unrolled: 1-line block ×4, first 2 shown]
_v_sub_u32 v129, s[sgprLoopCounterL], v129         // get distance between size and k index
v_cmp_lt_i32 s[32:33], v129, 4                     // set partial 0 if distance less than input per thread
s_and_b32 s34, s[sgprLoopCounterL], 3              // get inputs for edge thread
s_sub_u32 s34, 4, s34                              // use shift to fill 0 for outside element
s_lshl_b32 s34, s34, 4                             // use shift to fill 0 for outside element
v_mov_b32 v130, -1                                 // set 0xffffffff
v_mov_b32 v131, -1                                 // set 0xffffffff
v_lshrrev_b64 v[130:131], s34, v[130:131]          // rshift mask for partial k
v_cndmask_b32 v130, -1, v130, s[32:33]             // select shifted mask for partial k
v_cndmask_b32 v131, -1, v131, s[32:33]             // select shifted mask for partial k
v_and_b32 v[vgprValuB_X2_I0+0+0+0+0], v[vgprValuB_X2_I0+0+0+0+0], v130 // 
v_and_b32 v[vgprValuB_X2_I0+0+0+0+1], v[vgprValuB_X2_I0+0+0+0+1], v131 // 
v_and_b32 v[vgprValuB_X2_I0+2+0+0+0], v[vgprValuB_X2_I0+2+0+0+0], v130 // 
v_and_b32 v[vgprValuB_X2_I0+2+0+0+1], v[vgprValuB_X2_I0+2+0+0+1], v131 // 
s_nop 1
v_mfma_f32_32x32x8bf16_1k v[0+0:15+0], v[vgprValuB_X2_I0+0+0+0:vgprValuB_X2_I0+0+0+0+1], v[vgprValuA_X2_I0+0+0+0:vgprValuA_X2_I0+0+0+0+1], v[0:15]
v_mfma_f32_32x32x8bf16_1k v[16+0:31+0], v[vgprValuB_X2_I0+0+0+0:vgprValuB_X2_I0+0+0+0+1], v[vgprValuA_X2_I0+2+0+0:vgprValuA_X2_I0+2+0+0+1], v[16:31]
	;; [unrolled: 1-line block ×4, first 2 shown]


/* closeLoop loopL finalLoop=0 tailLoop=1 */
s_sub_i32 s[sgprLoopCounterL], s[sgprLoopCounterL], 0x8 // dec counterL (tailLoop)
s_add_u32 s[sgprOrigLoopCounter], s[sgprOrigLoopCounter], 0x8 // inc counterL
s_cmp_le_i32 s[sgprLoopCounterL], 0x0              // counterL<=0
s_cbranch_scc1 TailLoopEndL_7                      // exit LoopL


/* tail loop unroll iter 3 */


/* local read a */

_ds_load_u16 v[vgprValuA_X3_I0+0], v[vgprLocalReadAddrA] offset:0 // L -> Reg lro=0 swapByteOffset=0 ti=256 vIdx=0 rIdx=0 oIdx=0 buffer=3 iui=0
_ds_load_u16_d16_hi v129, v[vgprLocalReadAddrA] offset:512 // L -> Reg lro=0 swapByteOffset=0 ti=256 vIdx=0 rIdx=1 oIdx=0 buffer=3 iui=0
_ds_load_u16 v[vgprValuA_X3_I0+1], v[vgprLocalReadAddrA] offset:1024 // L -> Reg lro=0 swapByteOffset=0 ti=256 vIdx=0 rIdx=2 oIdx=0 buffer=3 iui=0
_ds_load_u16_d16_hi v130, v[vgprLocalReadAddrA] offset:1536 // L -> Reg lro=0 swapByteOffset=0 ti=256 vIdx=0 rIdx=3 oIdx=0 buffer=3 iui=0
_ds_load_u16 v[vgprValuA_X3_I0+2], v[vgprLocalReadAddrA] offset:2 // L -> Reg lro=0 swapByteOffset=0 ti=256 vIdx=0 rIdx=0 oIdx=0 buffer=3 iui=0
_ds_load_u16_d16_hi v131, v[vgprLocalReadAddrA] offset:514 // L -> Reg lro=0 swapByteOffset=0 ti=256 vIdx=0 rIdx=1 oIdx=0 buffer=3 iui=0
_ds_load_u16 v[vgprValuA_X3_I0+3], v[vgprLocalReadAddrA] offset:1026 // L -> Reg lro=0 swapByteOffset=0 ti=256 vIdx=0 rIdx=2 oIdx=0 buffer=3 iui=0
_ds_load_u16_d16_hi v132, v[vgprLocalReadAddrA] offset:1538 // L -> Reg lro=0 swapByteOffset=0 ti=256 vIdx=0 rIdx=3 oIdx=0 buffer=3 iui=0


/* local read b */

_ds_load_b64 v[vgprValuB_X3_I0+0:vgprValuB_X3_I0+0+1], v[vgprLocalReadAddrB] offset:0 // L -> Reg lro=0 swapByteOffset=0 ti=64 vIdx=0 rIdx=0 oIdx=0 buffer=3 iui=0
_ds_load_b64 v[vgprValuB_X3_I0+2:vgprValuB_X3_I0+2+1], v[vgprLocalReadAddrB] offset:64 // L -> Reg lro=0 swapByteOffset=0 ti=64 vIdx=0 rIdx=0 oIdx=0 buffer=3 iui=0


/* local read inc a */

s_mov_b32 s31, 0x1000                              // inc
_v_add_co_u32 v[vgprLocalReadAddrA], vcc, s31, v[vgprLocalReadAddrA] // lrA += 4096 (LSU*(MT+PAD)*bpe)


/* local read inc b */

s_mov_b32 s31, 0x10                                // inc
_v_add_co_u32 v[vgprLocalReadAddrB], vcc, s31, v[vgprLocalReadAddrB] // lrB += 16 (LSU*bpe)

s_waitcnt lgkmcnt(0)                               // lgkmcnt=0 vmcnt=-14wait for local read

v_or_b32 v[vgprValuA_X3_I0+0], v[vgprValuA_X3_I0+0], v129 // pack two half Vgpr to one Vgpr
v_or_b32 v[vgprValuA_X3_I0+1], v[vgprValuA_X3_I0+1], v130 // pack two half Vgpr to one Vgpr
	;; [unrolled: 1-line block ×4, first 2 shown]


/* tail loop mfma iter 3: numReadsIterCoalescedA=1, numReadsIterCoalescedB=1 */
v_and_b32 v129, 63, v[vgprSerial]                  // v129 = v[vgprSerial] % 64
v_lshrrev_b32 v129, 5, v129                        // v129 = v129 / 32
v_lshlrev_b32 v129, 0x2, v129                      // v129 = v129 * 4
v_cmp_ge_i32 s[32:33], v129, s[sgprLoopCounterL]   // check K index >= Size L
v_cndmask_b32 v[vgprValuB_X3_I0+0+0+0+0], v[vgprValuB_X3_I0+0+0+0+0], 0x0, s[32:33] // set 0 if K_idx >= sizeL
v_cndmask_b32 v[vgprValuB_X3_I0+2+0+0+0], v[vgprValuB_X3_I0+2+0+0+0], 0x0, s[32:33] // set 0 if K_idx >= sizeL
	;; [unrolled: 1-line block ×4, first 2 shown]
_v_sub_u32 v129, s[sgprLoopCounterL], v129         // get distance between size and k index
v_cmp_lt_i32 s[32:33], v129, 4                     // set partial 0 if distance less than input per thread
s_and_b32 s34, s[sgprLoopCounterL], 3              // get inputs for edge thread
s_sub_u32 s34, 4, s34                              // use shift to fill 0 for outside element
s_lshl_b32 s34, s34, 4                             // use shift to fill 0 for outside element
v_mov_b32 v130, -1                                 // set 0xffffffff
v_mov_b32 v131, -1                                 // set 0xffffffff
v_lshrrev_b64 v[130:131], s34, v[130:131]          // rshift mask for partial k
v_cndmask_b32 v130, -1, v130, s[32:33]             // select shifted mask for partial k
v_cndmask_b32 v131, -1, v131, s[32:33]             // select shifted mask for partial k
v_and_b32 v[vgprValuB_X3_I0+0+0+0+0], v[vgprValuB_X3_I0+0+0+0+0], v130 // 
v_and_b32 v[vgprValuB_X3_I0+0+0+0+1], v[vgprValuB_X3_I0+0+0+0+1], v131 // 
	;; [unrolled: 1-line block ×4, first 2 shown]
s_nop 1
v_mfma_f32_32x32x8bf16_1k v[0+0:15+0], v[vgprValuB_X3_I0+0+0+0:vgprValuB_X3_I0+0+0+0+1], v[vgprValuA_X3_I0+0+0+0:vgprValuA_X3_I0+0+0+0+1], v[0:15]
v_mfma_f32_32x32x8bf16_1k v[16+0:31+0], v[vgprValuB_X3_I0+0+0+0:vgprValuB_X3_I0+0+0+0+1], v[vgprValuA_X3_I0+2+0+0:vgprValuA_X3_I0+2+0+0+1], v[16:31]
	;; [unrolled: 1-line block ×4, first 2 shown]


/* closeLoop loopL finalLoop=1 tailLoop=1 */
s_sub_i32 s[sgprLoopCounterL], s[sgprLoopCounterL], 0x8 // dec counterL (tailLoop)
s_add_u32 s[sgprOrigLoopCounter], s[sgprOrigLoopCounter], 0x8 // inc counterL
s_cmp_le_i32 s[sgprLoopCounterL], 0x0              // counterL<=0
s_cbranch_scc0 TailLoopBeginL_6                    // restart LoopL
TailLoopEndL_7:

SkipTailLoopL_8:

Summation_End_29:
/* endSummation: add vgpr [64...124) to pool */
.set NumFullBlocks, UNDEF
.set WgmRemainder1, UNDEF
.set MagicNumberWgmRemainder1, UNDEF

/* Mapping of Acc register -> C Vgpr register */

/* Multiply MI out register with Alpha -> C Vgpr register */


/* shift vector components d0 */

v_mov_b32 v65, s[sgprWorkGroup0]                   // 
v_mul_i32_i24 v65, -0x100, v65                     // wg*MT
_v_add_co_u32 v65, vcc, s[sgprSizesFree+0], v65    // wgMT = Size - wg*MT
v_mov_b32 v66, 0x100                               // MT
v_min_u32 v65, v66, v65                            // wgMT = (wgMT < MT) ? wgMT : MT
v_lshrrev_b32 v64, 6, v[vgprSerial]                // v64 = v[vgprSerial] / 64
v_and_b32 v67, 3, v64                              // v67 = v64 % 4
v_lshrrev_b32 v64, 6, v65                          // v64 = v65 / 64
v_and_b32 v68, 3, v64                              // v68 = v64 % 4
v_cmp_eq_u32 s[32:33], v68, v67                    // wave_id == block_belong_to_wave?
v_cndmask_b32 v65, v66, v65, s[32:33]              // wgMT = (wgMT < MT) ? wgMT : MT

/* mbReg: which mb block need to shift, mb(matrixInstCoal(32) * VectorWidth(2)) */
v_lshrrev_b32 v66, 6, v65                          // v66 = v65 / 64
v_lshlrev_b32 v68, 0x0, v67                        // v68 = v67 * 1
_v_sub_u32 v66, v66, v68                           // 

/* gbReg: glvw block id */
v_lshrrev_b32 v68, 3, v65                          // v68 = v65 / 8

/* tgbReg: glvw block id */
v_lshrrev_b32 v64, 0, v[vgprSerial]                // v64 = v[vgprSerial] / 1
v_and_b32 v69, 31, v64                             // v69 = v64 % 32
v_lshlrev_b32 v69, 0x1, v69                        // v69 = v69 * 2
v_lshrrev_b32 v69, 3, v69                          // v69 = v69 / 8
v_lshlrev_b32 v67, 0x3, v67                        // v67 = v67 * 8
_v_add_co_u32 v69, vcc, v67, v69                   // tgbReg = (tid_coal * continOut) / GLVW
_v_sub_u32 v68, v68, v69                           // 

/* vwReg: glvw in which vw block? */
v_and_b32 v67, 1, v65                              // permute register between threads
v_lshrrev_b32 v67, 3, v67                          // permute register between threads

/* rReg : reminder of M_size % GlobalLoadVectorWidth */
v_and_b32 v69, 7, v65                              // v69 = v65 % 8
v_cmp_eq_u32 vcc, v69, 0x1                         // wgMT%VW == 1
s_cbranch_vccnz label_0030                         // branch to shift d0 r=1
v_cmp_eq_u32 vcc, v69, 0x2                         // wgMT%VW == 2
s_cbranch_vccnz label_0033                         // branch to shift d0 r=2
v_cmp_eq_u32 vcc, v69, 0x3                         // wgMT%VW == 3
s_cbranch_vccnz label_0036                         // branch to shift d0 r=3
v_cmp_eq_u32 vcc, v69, 0x4                         // wgMT%VW == 4
s_cbranch_vccnz label_0039                         // branch to shift d0 r=4
v_cmp_eq_u32 vcc, v69, 0x5                         // wgMT%VW == 5
s_cbranch_vccnz label_0042                         // branch to shift d0 r=5
v_cmp_eq_u32 vcc, v69, 0x6                         // wgMT%VW == 6
s_cbranch_vccnz label_0045                         // branch to shift d0 r=6
v_cmp_eq_u32 vcc, v69, 0x7                         // wgMT%VW == 7
s_cbranch_vccnz label_0048                         // branch to shift d0 r=7
s_branch label_0051                                // no shifting

/******************************************/
/* shift d0 r=1                           */
/******************************************/
label_0030:
v_cmp_eq_u32 vcc, v66, 0x0                         // 
s_cbranch_vccnz label_0031                         // branch to shift d0 r1 mb0

/******************************************/
/* shift d0 r=2                           */
/******************************************/
label_0033:
v_cmp_eq_u32 vcc, v66, 0x0                         // 
s_cbranch_vccnz label_0034                         // branch to shift d0 r2 mb0

/******************************************/
/* shift d0 r=3                           */
/******************************************/
label_0036:
v_cmp_eq_u32 vcc, v66, 0x0                         // 
s_cbranch_vccnz label_0037                         // branch to shift d0 r3 mb0

/******************************************/
/* shift d0 r=4                           */
/******************************************/
label_0039:
v_cmp_eq_u32 vcc, v66, 0x0                         // 
s_cbranch_vccnz label_0040                         // branch to shift d0 r4 mb0

/******************************************/
/* shift d0 r=5                           */
/******************************************/
label_0042:
v_cmp_eq_u32 vcc, v66, 0x0                         // 
s_cbranch_vccnz label_0043                         // branch to shift d0 r5 mb0

/******************************************/
/* shift d0 r=6                           */
/******************************************/
label_0045:
v_cmp_eq_u32 vcc, v66, 0x0                         // 
s_cbranch_vccnz label_0046                         // branch to shift d0 r6 mb0

/******************************************/
/* shift d0 r=7                           */
/******************************************/
label_0048:
v_cmp_eq_u32 vcc, v66, 0x0                         // 
s_cbranch_vccnz label_0049                         // branch to shift d0 r7 mb0

/******************************************/
/* shift d0 r=1 mb=0                      */
/******************************************/
label_0031: // r1 mb0 
v_cmp_eq_u32 vcc, v67, 0x0                         // 
s_cbranch_vccnz label_0032                         // branch to shift d0 r1 mb0 vw0

/******************************************/
/* shift d0 r=2 mb=0                      */
/******************************************/
label_0034: // r2 mb0 
v_cmp_eq_u32 vcc, v67, 0x0                         // 
s_cbranch_vccnz label_0035                         // branch to shift d0 r2 mb0 vw0

/******************************************/
/* shift d0 r=3 mb=0                      */
/******************************************/
label_0037: // r3 mb0 
v_cmp_eq_u32 vcc, v67, 0x0                         // 
s_cbranch_vccnz label_0038                         // branch to shift d0 r3 mb0 vw0

/******************************************/
/* shift d0 r=4 mb=0                      */
/******************************************/
label_0040: // r4 mb0 
v_cmp_eq_u32 vcc, v67, 0x0                         // 
s_cbranch_vccnz label_0041                         // branch to shift d0 r4 mb0 vw0

/******************************************/
/* shift d0 r=5 mb=0                      */
/******************************************/
label_0043: // r5 mb0 
v_cmp_eq_u32 vcc, v67, 0x0                         // 
s_cbranch_vccnz label_0044                         // branch to shift d0 r5 mb0 vw0

/******************************************/
/* shift d0 r=6 mb=0                      */
/******************************************/
label_0046: // r6 mb0 
v_cmp_eq_u32 vcc, v67, 0x0                         // 
s_cbranch_vccnz label_0047                         // branch to shift d0 r6 mb0 vw0

/******************************************/
/* shift d0 r=7 mb=0                      */
/******************************************/
label_0049: // r7 mb0 
v_cmp_eq_u32 vcc, v67, 0x0                         // 
s_cbranch_vccnz label_0050                         // branch to shift d0 r7 mb0 vw0

/******************************************/
/* shift d0 r=1 mb=0 vw0                  */
/******************************************/
label_0032: // r1 mb0 vw0 
s_mov_b32 s32, 0                                   // 
_v_cmpx_eq_u32 s[32:33], v68, s32                  // is thread in edge glvw region
v_and_b32 v64, 63, v[vgprSerial]                   // permute register between threads
v_lshlrev_b32 v64, 2, v64                          // permute register between threads
v_mov_b32 v69, v16                                 // glvw 1 mb 0 tt1 0 r 0
ds_bpermute_b32 v69, v64, v69, offset:12           // permute edge values
s_waitcnt 0                                        // wait for swizzle operation
v_mov_b32 v0, v69                                  // 
v_mov_b32 v69, v48                                 // glvw 1 mb 0 tt1 1 r 0
ds_bpermute_b32 v69, v64, v69, offset:12           // permute edge values
s_waitcnt 0                                        // wait for swizzle operation
v_mov_b32 v32, v69                                 // 
v_mov_b32 v69, v17                                 // glvw 1 mb 0 tt1 2 r 0
ds_bpermute_b32 v69, v64, v69, offset:12           // permute edge values
s_waitcnt 0                                        // wait for swizzle operation
v_mov_b32 v1, v69                                  // 
v_mov_b32 v69, v49                                 // glvw 1 mb 0 tt1 3 r 0
ds_bpermute_b32 v69, v64, v69, offset:12           // permute edge values
s_waitcnt 0                                        // wait for swizzle operation
v_mov_b32 v33, v69                                 // 
	;; [unrolled: 8-line block ×10, first 2 shown]
v_mov_b32 v69, v26                                 // glvw 1 mb 0 tt1 20 r 0
ds_bpermute_b32 v69, v64, v69, offset:12           // permute edge values
s_waitcnt 0                                        // wait for swizzle operation
v_mov_b32 v10, v69                                 // 
v_mov_b32 v69, v58                                 // glvw 1 mb 0 tt1 21 r 0
ds_bpermute_b32 v69, v64, v69, offset:12           // permute edge values
s_waitcnt 0                                        // wait for swizzle operation
v_mov_b32 v42, v69                                 // 
	;; [unrolled: 4-line block ×12, first 2 shown]
s_mov_b64 s[32:33], 0xFFFFFFFFFFFFFFFF             // to restore all threads active
s_or_saveexec_b64 vcc, s[32:33]                    // all threads active
s_branch label_0051                                // done shifting


/******************************************/
/* shift d0 r=2 mb=0 vw0                  */
/******************************************/
label_0035: // r2 mb0 vw0 
s_mov_b32 s32, 0                                   // 
_v_cmpx_eq_u32 s[32:33], v68, s32                  // is thread in edge glvw region
v_and_b32 v64, 63, v[vgprSerial]                   // permute register between threads
v_lshlrev_b32 v64, 2, v64                          // permute register between threads
v_mov_b32 v69, v0                                  // glvw 2 mb 0 tt1 0 r 0
v_mov_b32 v70, v16                                 // glvw 2 mb 0 tt1 0 r 0
ds_bpermute_b32 v69, v64, v69, offset:12           // permute edge values
ds_bpermute_b32 v70, v64, v70, offset:12           // permute edge values
s_waitcnt 0                                        // wait for swizzle operation
v_mov_b32 v0, v69                                  // 
v_mov_b32 v16, v70                                 // 
v_mov_b32 v69, v32                                 // glvw 2 mb 0 tt1 1 r 0
v_mov_b32 v70, v48                                 // glvw 2 mb 0 tt1 1 r 0
ds_bpermute_b32 v69, v64, v69, offset:12           // permute edge values
ds_bpermute_b32 v70, v64, v70, offset:12           // permute edge values
s_waitcnt 0                                        // wait for swizzle operation
v_mov_b32 v32, v69                                 // 
v_mov_b32 v48, v70                                 // 
v_mov_b32 v69, v1                                  // glvw 2 mb 0 tt1 2 r 0
v_mov_b32 v70, v17                                 // glvw 2 mb 0 tt1 2 r 0
ds_bpermute_b32 v69, v64, v69, offset:12           // permute edge values
ds_bpermute_b32 v70, v64, v70, offset:12           // permute edge values
s_waitcnt 0                                        // wait for swizzle operation
v_mov_b32 v1, v69                                  // 
v_mov_b32 v17, v70                                 // 
v_mov_b32 v69, v33                                 // glvw 2 mb 0 tt1 3 r 0
v_mov_b32 v70, v49                                 // glvw 2 mb 0 tt1 3 r 0
ds_bpermute_b32 v69, v64, v69, offset:12           // permute edge values
ds_bpermute_b32 v70, v64, v70, offset:12           // permute edge values
s_waitcnt 0                                        // wait for swizzle operation
v_mov_b32 v33, v69                                 // 
v_mov_b32 v49, v70                                 // 
	;; [unrolled: 14-line block ×10, first 2 shown]
v_mov_b32 v69, v10                                 // glvw 2 mb 0 tt1 20 r 0
v_mov_b32 v70, v26                                 // glvw 2 mb 0 tt1 20 r 0
ds_bpermute_b32 v69, v64, v69, offset:12           // permute edge values
ds_bpermute_b32 v70, v64, v70, offset:12           // permute edge values
s_waitcnt 0                                        // wait for swizzle operation
v_mov_b32 v10, v69                                 // 
v_mov_b32 v26, v70                                 // 
v_mov_b32 v69, v42                                 // glvw 2 mb 0 tt1 21 r 0
v_mov_b32 v70, v58                                 // glvw 2 mb 0 tt1 21 r 0
ds_bpermute_b32 v69, v64, v69, offset:12           // permute edge values
ds_bpermute_b32 v70, v64, v70, offset:12           // permute edge values
s_waitcnt 0                                        // wait for swizzle operation
v_mov_b32 v42, v69                                 // 
v_mov_b32 v58, v70                                 // 
	;; [unrolled: 7-line block ×12, first 2 shown]
s_mov_b64 s[32:33], 0xFFFFFFFFFFFFFFFF             // to restore all threads active
s_or_saveexec_b64 vcc, s[32:33]                    // all threads active
s_branch label_0051                                // done shifting


/******************************************/
/* shift d0 r=3 mb=0 vw0                  */
/******************************************/
label_0038: // r3 mb0 vw0 
s_mov_b32 s32, 0                                   // 
_v_cmpx_eq_u32 s[32:33], v68, s32                  // is thread in edge glvw region
v_and_b32 v64, 63, v[vgprSerial]                   // permute register between threads
v_lshlrev_b32 v64, 2, v64                          // permute register between threads
v_mov_b32 v69, v16                                 // glvw 3 mb 0 tt1 0 r 0
v_mov_b32 v70, v0                                  // glvw 3 mb 0 tt1 0 r 0
ds_bpermute_b32 v69, v64, v69, offset:8            // permute edge values
ds_bpermute_b32 v70, v64, v70, offset:12           // permute edge values
s_waitcnt 0                                        // wait for swizzle operation
v_mov_b32 v0, v69                                  // 
v_mov_b32 v16, v70                                 // 
v_mov_b32 v69, v48                                 // glvw 3 mb 0 tt1 1 r 0
v_mov_b32 v70, v32                                 // glvw 3 mb 0 tt1 1 r 0
ds_bpermute_b32 v69, v64, v69, offset:8            // permute edge values
ds_bpermute_b32 v70, v64, v70, offset:12           // permute edge values
s_waitcnt 0                                        // wait for swizzle operation
v_mov_b32 v32, v69                                 // 
v_mov_b32 v48, v70                                 // 
v_mov_b32 v69, v17                                 // glvw 3 mb 0 tt1 2 r 0
v_mov_b32 v70, v1                                  // glvw 3 mb 0 tt1 2 r 0
ds_bpermute_b32 v69, v64, v69, offset:8            // permute edge values
ds_bpermute_b32 v70, v64, v70, offset:12           // permute edge values
s_waitcnt 0                                        // wait for swizzle operation
v_mov_b32 v1, v69                                  // 
v_mov_b32 v17, v70                                 // 
v_mov_b32 v69, v49                                 // glvw 3 mb 0 tt1 3 r 0
v_mov_b32 v70, v33                                 // glvw 3 mb 0 tt1 3 r 0
ds_bpermute_b32 v69, v64, v69, offset:8            // permute edge values
ds_bpermute_b32 v70, v64, v70, offset:12           // permute edge values
s_waitcnt 0                                        // wait for swizzle operation
v_mov_b32 v33, v69                                 // 
v_mov_b32 v49, v70                                 // 
	;; [unrolled: 14-line block ×10, first 2 shown]
v_mov_b32 v69, v26                                 // glvw 3 mb 0 tt1 20 r 0
v_mov_b32 v70, v10                                 // glvw 3 mb 0 tt1 20 r 0
ds_bpermute_b32 v69, v64, v69, offset:8            // permute edge values
ds_bpermute_b32 v70, v64, v70, offset:12           // permute edge values
s_waitcnt 0                                        // wait for swizzle operation
v_mov_b32 v10, v69                                 // 
v_mov_b32 v26, v70                                 // 
v_mov_b32 v69, v58                                 // glvw 3 mb 0 tt1 21 r 0
v_mov_b32 v70, v42                                 // glvw 3 mb 0 tt1 21 r 0
ds_bpermute_b32 v69, v64, v69, offset:8            // permute edge values
ds_bpermute_b32 v70, v64, v70, offset:12           // permute edge values
s_waitcnt 0                                        // wait for swizzle operation
v_mov_b32 v42, v69                                 // 
v_mov_b32 v58, v70                                 // 
v_mov_b32 v69, v27                                 // glvw 3 mb 0 tt1 22 r 0
v_mov_b32 v70, v11                                 // glvw 3 mb 0 tt1 22 r 0
ds_bpermute_b32 v69, v64, v69, offset:8            // permute edge values
ds_bpermute_b32 v70, v64, v70, offset:12           // permute edge values
s_waitcnt 0                                        // wait for swizzle operation
v_mov_b32 v11, v69                                 // 
v_mov_b32 v27, v70                                 // 
v_mov_b32 v69, v59                                 // glvw 3 mb 0 tt1 23 r 0
v_mov_b32 v70, v43                                 // glvw 3 mb 0 tt1 23 r 0
ds_bpermute_b32 v69, v64, v69, offset:8            // permute edge values
ds_bpermute_b32 v70, v64, v70, offset:12           // permute edge values
s_waitcnt 0                                        // wait for swizzle operation
v_mov_b32 v43, v69                                 // 
v_mov_b32 v59, v70                                 // 
v_mov_b32 v69, v28                                 // glvw 3 mb 0 tt1 24 r 0
v_mov_b32 v70, v12                                 // glvw 3 mb 0 tt1 24 r 0
ds_bpermute_b32 v69, v64, v69, offset:8            // permute edge values
ds_bpermute_b32 v70, v64, v70, offset:12           // permute edge values
s_waitcnt 0                                        // wait for swizzle operation
v_mov_b32 v12, v69                                 // 
v_mov_b32 v28, v70                                 // 
v_mov_b32 v69, v60                                 // glvw 3 mb 0 tt1 25 r 0
v_mov_b32 v70, v44                                 // glvw 3 mb 0 tt1 25 r 0
ds_bpermute_b32 v69, v64, v69, offset:8            // permute edge values
ds_bpermute_b32 v70, v64, v70, offset:12           // permute edge values
s_waitcnt 0                                        // wait for swizzle operation
v_mov_b32 v44, v69                                 // 
v_mov_b32 v60, v70                                 // 
v_mov_b32 v69, v29                                 // glvw 3 mb 0 tt1 26 r 0
v_mov_b32 v70, v13                                 // glvw 3 mb 0 tt1 26 r 0
ds_bpermute_b32 v69, v64, v69, offset:8            // permute edge values
ds_bpermute_b32 v70, v64, v70, offset:12           // permute edge values
s_waitcnt 0                                        // wait for swizzle operation
v_mov_b32 v13, v69                                 // 
v_mov_b32 v29, v70                                 // 
v_mov_b32 v69, v61                                 // glvw 3 mb 0 tt1 27 r 0
v_mov_b32 v70, v45                                 // glvw 3 mb 0 tt1 27 r 0
ds_bpermute_b32 v69, v64, v69, offset:8            // permute edge values
ds_bpermute_b32 v70, v64, v70, offset:12           // permute edge values
s_waitcnt 0                                        // wait for swizzle operation
v_mov_b32 v45, v69                                 // 
v_mov_b32 v61, v70                                 // 
v_mov_b32 v69, v30                                 // glvw 3 mb 0 tt1 28 r 0
v_mov_b32 v70, v14                                 // glvw 3 mb 0 tt1 28 r 0
ds_bpermute_b32 v69, v64, v69, offset:8            // permute edge values
ds_bpermute_b32 v70, v64, v70, offset:12           // permute edge values
s_waitcnt 0                                        // wait for swizzle operation
v_mov_b32 v14, v69                                 // 
v_mov_b32 v30, v70                                 // 
v_mov_b32 v69, v62                                 // glvw 3 mb 0 tt1 29 r 0
v_mov_b32 v70, v46                                 // glvw 3 mb 0 tt1 29 r 0
ds_bpermute_b32 v69, v64, v69, offset:8            // permute edge values
ds_bpermute_b32 v70, v64, v70, offset:12           // permute edge values
s_waitcnt 0                                        // wait for swizzle operation
v_mov_b32 v46, v69                                 // 
v_mov_b32 v62, v70                                 // 
v_mov_b32 v69, v31                                 // glvw 3 mb 0 tt1 30 r 0
v_mov_b32 v70, v15                                 // glvw 3 mb 0 tt1 30 r 0
ds_bpermute_b32 v69, v64, v69, offset:8            // permute edge values
ds_bpermute_b32 v70, v64, v70, offset:12           // permute edge values
s_waitcnt 0                                        // wait for swizzle operation
v_mov_b32 v15, v69                                 // 
v_mov_b32 v31, v70                                 // 
v_mov_b32 v69, v63                                 // glvw 3 mb 0 tt1 31 r 0
v_mov_b32 v70, v47                                 // glvw 3 mb 0 tt1 31 r 0
ds_bpermute_b32 v69, v64, v69, offset:8            // permute edge values
ds_bpermute_b32 v70, v64, v70, offset:12           // permute edge values
s_waitcnt 0                                        // wait for swizzle operation
v_mov_b32 v47, v69                                 // 
v_mov_b32 v63, v70                                 // 
s_mov_b64 s[32:33], 0xFFFFFFFFFFFFFFFF             // to restore all threads active
s_or_saveexec_b64 vcc, s[32:33]                    // all threads active
s_branch label_0051                                // done shifting


/******************************************/
/* shift d0 r=4 mb=0 vw0                  */
/******************************************/
label_0041: // r4 mb0 vw0 
s_mov_b32 s32, 0                                   // 
_v_cmpx_eq_u32 s[32:33], v68, s32                  // is thread in edge glvw region
v_and_b32 v64, 63, v[vgprSerial]                   // permute register between threads
v_lshlrev_b32 v64, 2, v64                          // permute register between threads
v_mov_b32 v69, v0                                  // glvw 4 mb 0 tt1 0 r 0
v_mov_b32 v70, v16                                 // glvw 4 mb 0 tt1 0 r 0
ds_bpermute_b32 v69, v64, v69, offset:8            // permute edge values
ds_bpermute_b32 v70, v64, v70, offset:8            // permute edge values
s_waitcnt 0                                        // wait for swizzle operation
v_mov_b32 v0, v69                                  // 
v_mov_b32 v16, v70                                 // 
v_mov_b32 v69, v32                                 // glvw 4 mb 0 tt1 1 r 0
v_mov_b32 v70, v48                                 // glvw 4 mb 0 tt1 1 r 0
ds_bpermute_b32 v69, v64, v69, offset:8            // permute edge values
ds_bpermute_b32 v70, v64, v70, offset:8            // permute edge values
s_waitcnt 0                                        // wait for swizzle operation
v_mov_b32 v32, v69                                 // 
v_mov_b32 v48, v70                                 // 
v_mov_b32 v69, v1                                  // glvw 4 mb 0 tt1 2 r 0
v_mov_b32 v70, v17                                 // glvw 4 mb 0 tt1 2 r 0
ds_bpermute_b32 v69, v64, v69, offset:8            // permute edge values
ds_bpermute_b32 v70, v64, v70, offset:8            // permute edge values
s_waitcnt 0                                        // wait for swizzle operation
v_mov_b32 v1, v69                                  // 
v_mov_b32 v17, v70                                 // 
v_mov_b32 v69, v33                                 // glvw 4 mb 0 tt1 3 r 0
v_mov_b32 v70, v49                                 // glvw 4 mb 0 tt1 3 r 0
ds_bpermute_b32 v69, v64, v69, offset:8            // permute edge values
ds_bpermute_b32 v70, v64, v70, offset:8            // permute edge values
s_waitcnt 0                                        // wait for swizzle operation
v_mov_b32 v33, v69                                 // 
v_mov_b32 v49, v70                                 // 
	;; [unrolled: 14-line block ×10, first 2 shown]
v_mov_b32 v69, v10                                 // glvw 4 mb 0 tt1 20 r 0
v_mov_b32 v70, v26                                 // glvw 4 mb 0 tt1 20 r 0
ds_bpermute_b32 v69, v64, v69, offset:8            // permute edge values
ds_bpermute_b32 v70, v64, v70, offset:8            // permute edge values
s_waitcnt 0                                        // wait for swizzle operation
v_mov_b32 v10, v69                                 // 
v_mov_b32 v26, v70                                 // 
v_mov_b32 v69, v42                                 // glvw 4 mb 0 tt1 21 r 0
v_mov_b32 v70, v58                                 // glvw 4 mb 0 tt1 21 r 0
ds_bpermute_b32 v69, v64, v69, offset:8            // permute edge values
ds_bpermute_b32 v70, v64, v70, offset:8            // permute edge values
s_waitcnt 0                                        // wait for swizzle operation
v_mov_b32 v42, v69                                 // 
v_mov_b32 v58, v70                                 // 
	;; [unrolled: 7-line block ×12, first 2 shown]
s_mov_b64 s[32:33], 0xFFFFFFFFFFFFFFFF             // to restore all threads active
s_or_saveexec_b64 vcc, s[32:33]                    // all threads active
s_branch label_0051                                // done shifting


/******************************************/
/* shift d0 r=5 mb=0 vw0                  */
/******************************************/
label_0044: // r5 mb0 vw0 
s_mov_b32 s32, 0                                   // 
_v_cmpx_eq_u32 s[32:33], v68, s32                  // is thread in edge glvw region
v_and_b32 v64, 63, v[vgprSerial]                   // permute register between threads
v_lshlrev_b32 v64, 2, v64                          // permute register between threads
v_mov_b32 v69, v16                                 // glvw 5 mb 0 tt1 0 r 0
v_mov_b32 v70, v0                                  // glvw 5 mb 0 tt1 0 r 0
ds_bpermute_b32 v69, v64, v69, offset:4            // permute edge values
ds_bpermute_b32 v70, v64, v70, offset:8            // permute edge values
s_waitcnt 0                                        // wait for swizzle operation
v_mov_b32 v0, v69                                  // 
v_mov_b32 v16, v70                                 // 
v_mov_b32 v69, v48                                 // glvw 5 mb 0 tt1 1 r 0
v_mov_b32 v70, v32                                 // glvw 5 mb 0 tt1 1 r 0
ds_bpermute_b32 v69, v64, v69, offset:4            // permute edge values
ds_bpermute_b32 v70, v64, v70, offset:8            // permute edge values
s_waitcnt 0                                        // wait for swizzle operation
v_mov_b32 v32, v69                                 // 
v_mov_b32 v48, v70                                 // 
v_mov_b32 v69, v17                                 // glvw 5 mb 0 tt1 2 r 0
v_mov_b32 v70, v1                                  // glvw 5 mb 0 tt1 2 r 0
ds_bpermute_b32 v69, v64, v69, offset:4            // permute edge values
ds_bpermute_b32 v70, v64, v70, offset:8            // permute edge values
s_waitcnt 0                                        // wait for swizzle operation
v_mov_b32 v1, v69                                  // 
v_mov_b32 v17, v70                                 // 
v_mov_b32 v69, v49                                 // glvw 5 mb 0 tt1 3 r 0
v_mov_b32 v70, v33                                 // glvw 5 mb 0 tt1 3 r 0
ds_bpermute_b32 v69, v64, v69, offset:4            // permute edge values
ds_bpermute_b32 v70, v64, v70, offset:8            // permute edge values
s_waitcnt 0                                        // wait for swizzle operation
v_mov_b32 v33, v69                                 // 
v_mov_b32 v49, v70                                 // 
	;; [unrolled: 14-line block ×10, first 2 shown]
v_mov_b32 v69, v26                                 // glvw 5 mb 0 tt1 20 r 0
v_mov_b32 v70, v10                                 // glvw 5 mb 0 tt1 20 r 0
ds_bpermute_b32 v69, v64, v69, offset:4            // permute edge values
ds_bpermute_b32 v70, v64, v70, offset:8            // permute edge values
s_waitcnt 0                                        // wait for swizzle operation
v_mov_b32 v10, v69                                 // 
v_mov_b32 v26, v70                                 // 
v_mov_b32 v69, v58                                 // glvw 5 mb 0 tt1 21 r 0
v_mov_b32 v70, v42                                 // glvw 5 mb 0 tt1 21 r 0
ds_bpermute_b32 v69, v64, v69, offset:4            // permute edge values
ds_bpermute_b32 v70, v64, v70, offset:8            // permute edge values
s_waitcnt 0                                        // wait for swizzle operation
v_mov_b32 v42, v69                                 // 
v_mov_b32 v58, v70                                 // 
	;; [unrolled: 7-line block ×12, first 2 shown]
s_mov_b64 s[32:33], 0xFFFFFFFFFFFFFFFF             // to restore all threads active
s_or_saveexec_b64 vcc, s[32:33]                    // all threads active
s_branch label_0051                                // done shifting


/******************************************/
/* shift d0 r=6 mb=0 vw0                  */
/******************************************/
label_0047: // r6 mb0 vw0 
s_mov_b32 s32, 0                                   // 
_v_cmpx_eq_u32 s[32:33], v68, s32                  // is thread in edge glvw region
v_and_b32 v64, 63, v[vgprSerial]                   // permute register between threads
v_lshlrev_b32 v64, 2, v64                          // permute register between threads
v_mov_b32 v69, v0                                  // glvw 6 mb 0 tt1 0 r 0
v_mov_b32 v70, v16                                 // glvw 6 mb 0 tt1 0 r 0
ds_bpermute_b32 v69, v64, v69, offset:4            // permute edge values
ds_bpermute_b32 v70, v64, v70, offset:4            // permute edge values
s_waitcnt 0                                        // wait for swizzle operation
v_mov_b32 v0, v69                                  // 
v_mov_b32 v16, v70                                 // 
v_mov_b32 v69, v32                                 // glvw 6 mb 0 tt1 1 r 0
v_mov_b32 v70, v48                                 // glvw 6 mb 0 tt1 1 r 0
ds_bpermute_b32 v69, v64, v69, offset:4            // permute edge values
ds_bpermute_b32 v70, v64, v70, offset:4            // permute edge values
s_waitcnt 0                                        // wait for swizzle operation
v_mov_b32 v32, v69                                 // 
v_mov_b32 v48, v70                                 // 
v_mov_b32 v69, v1                                  // glvw 6 mb 0 tt1 2 r 0
v_mov_b32 v70, v17                                 // glvw 6 mb 0 tt1 2 r 0
ds_bpermute_b32 v69, v64, v69, offset:4            // permute edge values
ds_bpermute_b32 v70, v64, v70, offset:4            // permute edge values
s_waitcnt 0                                        // wait for swizzle operation
v_mov_b32 v1, v69                                  // 
v_mov_b32 v17, v70                                 // 
v_mov_b32 v69, v33                                 // glvw 6 mb 0 tt1 3 r 0
v_mov_b32 v70, v49                                 // glvw 6 mb 0 tt1 3 r 0
ds_bpermute_b32 v69, v64, v69, offset:4            // permute edge values
ds_bpermute_b32 v70, v64, v70, offset:4            // permute edge values
s_waitcnt 0                                        // wait for swizzle operation
v_mov_b32 v33, v69                                 // 
v_mov_b32 v49, v70                                 // 
	;; [unrolled: 14-line block ×10, first 2 shown]
v_mov_b32 v69, v10                                 // glvw 6 mb 0 tt1 20 r 0
v_mov_b32 v70, v26                                 // glvw 6 mb 0 tt1 20 r 0
ds_bpermute_b32 v69, v64, v69, offset:4            // permute edge values
ds_bpermute_b32 v70, v64, v70, offset:4            // permute edge values
s_waitcnt 0                                        // wait for swizzle operation
v_mov_b32 v10, v69                                 // 
v_mov_b32 v26, v70                                 // 
v_mov_b32 v69, v42                                 // glvw 6 mb 0 tt1 21 r 0
v_mov_b32 v70, v58                                 // glvw 6 mb 0 tt1 21 r 0
ds_bpermute_b32 v69, v64, v69, offset:4            // permute edge values
ds_bpermute_b32 v70, v64, v70, offset:4            // permute edge values
s_waitcnt 0                                        // wait for swizzle operation
v_mov_b32 v42, v69                                 // 
v_mov_b32 v58, v70                                 // 
	;; [unrolled: 7-line block ×12, first 2 shown]
s_mov_b64 s[32:33], 0xFFFFFFFFFFFFFFFF             // to restore all threads active
s_or_saveexec_b64 vcc, s[32:33]                    // all threads active
s_branch label_0051                                // done shifting


/******************************************/
/* shift d0 r=7 mb=0 vw0                  */
/******************************************/
label_0050: // r7 mb0 vw0 
s_mov_b32 s32, 0                                   // 
_v_cmpx_eq_u32 s[32:33], v68, s32                  // is thread in edge glvw region
v_and_b32 v64, 63, v[vgprSerial]                   // permute register between threads
v_lshlrev_b32 v64, 2, v64                          // permute register between threads
v_mov_b32 v69, v16                                 // glvw 7 mb 0 tt1 0 r 0
v_mov_b32 v70, v0                                  // glvw 7 mb 0 tt1 0 r 0
ds_bpermute_b32 v70, v64, v70, offset:4            // permute edge values
s_waitcnt 0                                        // wait for swizzle operation
v_mov_b32 v0, v69                                  // 
v_mov_b32 v16, v70                                 // 
v_mov_b32 v69, v48                                 // glvw 7 mb 0 tt1 1 r 0
v_mov_b32 v70, v32                                 // glvw 7 mb 0 tt1 1 r 0
ds_bpermute_b32 v70, v64, v70, offset:4            // permute edge values
s_waitcnt 0                                        // wait for swizzle operation
v_mov_b32 v32, v69                                 // 
v_mov_b32 v48, v70                                 // 
v_mov_b32 v69, v17                                 // glvw 7 mb 0 tt1 2 r 0
v_mov_b32 v70, v1                                  // glvw 7 mb 0 tt1 2 r 0
ds_bpermute_b32 v70, v64, v70, offset:4            // permute edge values
s_waitcnt 0                                        // wait for swizzle operation
v_mov_b32 v1, v69                                  // 
v_mov_b32 v17, v70                                 // 
v_mov_b32 v69, v49                                 // glvw 7 mb 0 tt1 3 r 0
v_mov_b32 v70, v33                                 // glvw 7 mb 0 tt1 3 r 0
ds_bpermute_b32 v70, v64, v70, offset:4            // permute edge values
s_waitcnt 0                                        // wait for swizzle operation
v_mov_b32 v33, v69                                 // 
v_mov_b32 v49, v70                                 // 
	;; [unrolled: 12-line block ×10, first 2 shown]
v_mov_b32 v69, v26                                 // glvw 7 mb 0 tt1 20 r 0
v_mov_b32 v70, v10                                 // glvw 7 mb 0 tt1 20 r 0
ds_bpermute_b32 v70, v64, v70, offset:4            // permute edge values
s_waitcnt 0                                        // wait for swizzle operation
v_mov_b32 v10, v69                                 // 
v_mov_b32 v26, v70                                 // 
v_mov_b32 v69, v58                                 // glvw 7 mb 0 tt1 21 r 0
v_mov_b32 v70, v42                                 // glvw 7 mb 0 tt1 21 r 0
ds_bpermute_b32 v70, v64, v70, offset:4            // permute edge values
s_waitcnt 0                                        // wait for swizzle operation
v_mov_b32 v42, v69                                 // 
v_mov_b32 v58, v70                                 // 
	;; [unrolled: 6-line block ×12, first 2 shown]
s_mov_b64 s[32:33], 0xFFFFFFFFFFFFFFFF             // to restore all threads active
s_or_saveexec_b64 vcc, s[32:33]                    // all threads active
s_branch label_0051                                // done shifting

label_0051: // end shift0


	;; [unrolled: 1-line block ×3, first 2 shown]
/* not-LocalSplitU: global write indices */

/* computeStoreVgprs */
v_lshrrev_b32 v68, 6, v[vgprSerial]                // v68 = v[vgprSerial] / 64
v_and_b32 v65, 63, v[vgprSerial]                   // v65 = v[vgprSerial] % 64
v_lshrrev_b32 v65, 5, v65                          // v65 = v65 / 32
v_lshlrev_b32 v65, 0x2, v65                        // thread0 * continuous_output
v_lshrrev_b32 v69, 2, v68                          // v69 = v68 / 4
v_mul_lo_u32 v69, 0x20, v69                        // wave coordination offset 1
_v_add_lshl_u32 v65, v69, v65, 1                   // coordination 1 = vwb *(wave_id1 + tid1)
v_mul_lo_u32 v66, v65, s[sgprStrideC1J]            //  offset 1
v_mul_lo_u32 v67, v65, s[sgprStrideD1J]            //  offset 1
v_and_b32 v69, 3, v68                              // v69 = v68 % 4
v_mul_lo_u32 v69, 0x20, v69                        // wave coordination offset 0
v_and_b32 v64, 31, v[vgprSerial]                   // v64 = v[vgprSerial] % 32
_v_add_lshl_u32 v64, v69, v64, 1                   // coordination 0 = vwa *(wave_id0 + tid0)
s_mul_i32 s31, 256, s[sgprWorkGroup0]              // wgp0 * MT0
_v_add_u32 v64, s31, v64                           // coord 0 = (tid0/MI_m)*4 + waveG0*MIB_m + MT0*SG0
s_mul_i32 s31, 64, s[sgprWorkGroup1]               // wgp1 * MT1
_v_add_u32 v65, s31, v65                           // coord 1 = (tid0%MI_m) + waveG1*MIB_n + MT1*SG1


/* not-LocalSplitU: global write */

s_cmpk_eq_u32 s[sgprBeta], 0x0                     // Beta == 0
s_cbranch_scc0 GW_Beta_68                          // Branch if Beta is not zero

s_and_b32 s32, 255, s[sgprSizeI]                   // s32 = s[sgprSizeI] % 256
s_add_u32 s33, -0x1, s[sgprNumWorkGroups0]         // 
s_cmp_ge_u32 s[sgprWorkGroup0], s33                // wg0 >= nwg0-1 ?
s_cselect_b32 s32, s32, 0                          // set rMT0
s_cmpk_gt_u32 s32, 0x0                             // rMT0 > 0
s_cbranch_scc1 GW_B0_E1_59                         // jump if edges required
s_and_b32 s32, 63, s[sgprSizeJ]                    // s32 = s[sgprSizeJ] % 64
s_add_u32 s33, -0x1, s[sgprNumWorkGroups1]         // 
s_cmp_ge_u32 s[sgprWorkGroup1], s33                // wg1 >= nwg1-1
s_cselect_b32 s32, s32, 0                          // set rMT1
s_cmpk_gt_u32 s32, 0x0                             // rMT1 > 0
s_cbranch_scc1 GW_B0_E1_59                         // jump if edges required
GW_B0_E0_56:

/* edge=0, allocate 2 sgpr. perBatchTmpS=2 perBatchMaskS=0 perElementMaskS=0 elementsPerBatch=44 */
/* optSingleColVgpr=1 optSharedColVgpr=0 optSGPRUsage=BufferLoad_Mask optSrdIncForRow=1 */

/******************************************/
/* Global Write Alpha Batch #0 (d1,d0,vc1,vc0) = */
/*    (0,0,0,0:vw2); (0,0,1,0:vw2); (0,0,2,0:vw2); (0,0,3,0:vw2); (0,0,4,0:vw2); (0,0,5,0:vw2); (0,0,6,0:vw2); (0,0,7,0:vw2); (1,0,0,0:vw2); (1,0,1,0:vw2); (1,0,2,0:vw2); (1,0,3,0:vw2); (1,0,4,0:vw2); (1,0,5,0:vw2); (1,0,6,0:vw2); (1,0,7,0:vw2); (2,0,0,0:vw2); (2,0,1,0:vw2); (2,0,2,0:vw2); (2,0,3,0:vw2); (2,0,4,0:vw2); (2,0,5,0:vw2); (2,0,6,0:vw2); (2,0,7,0:vw2); (3,0,0,0:vw2); (3,0,1,0:vw2); (3,0,2,0:vw2); (3,0,3,0:vw2); (3,0,4,0:vw2); (3,0,5,0:vw2); (3,0,6,0:vw2); (3,0,7,0:vw2) */
/******************************************/

/* calc coords, apply mask, and issue loads (if necessary) */
/* (d1,vc1,d0,vc0)=(0,0,0,0) */
/* (d1,vc1,d0,vc0)=(0,1,0,0) */
	;; [unrolled: 1-line block ×32, first 2 shown]
_v_add_lshl_u32 v70, v67, v64, 0x1                 // optSingleColVgpr scaleToBpe: sharedAddrVgpr <- cinRowPtr + coord0, scaled by BPE. BSHERE:coord0=64, coord0Vgpr=64

/* rC *= alpha batchElements=[(0, 0, 0, 0), (0, 0, 1, 0), (0, 0, 2, 0), (0, 0, 3, 0), (0, 0, 4, 0), (0, 0, 5, 0), (0, 0, 6, 0), (0, 0, 7, 0), (1, 0, 0, 0), (1, 0, 1, 0), (1, 0, 2, 0), (1, 0, 3, 0), (1, 0, 4, 0), (1, 0, 5, 0), (1, 0, 6, 0), (1, 0, 7, 0), (2, 0, 0, 0), (2, 0, 1, 0), (2, 0, 2, 0), (2, 0, 3, 0), (2, 0, 4, 0), (2, 0, 5, 0), (2, 0, 6, 0), (2, 0, 7, 0), (3, 0, 0, 0), (3, 0, 1, 0), (3, 0, 2, 0), (3, 0, 3, 0), (3, 0, 4, 0), (3, 0, 5, 0), (3, 0, 6, 0), (3, 0, 7, 0)] */
v_mul_f32 v[vgprValuC+72], s[sgprAlpha], v[vgprValuC+0] // Multiply MI out reg with alpha
v_mul_f32 v[vgprValuC+73], s[sgprAlpha], v[vgprValuC+16] // Multiply MI out reg with alpha
	;; [unrolled: 1-line block ×64, first 2 shown]

/* apply mask, calc new C and issue writes */
v_cvt_f16_f32 v[vgprValuC+72], v[vgprValuC+72]     // convert C to fp16
v_cvt_f16_f32 v[vgprValuC+73], v[vgprValuC+73]     // convert C to fp16
v_pack_b32_f16 v72, v[vgprValuC+72], v[vgprValuC+73] // Pack with neighbor
_buffer_store_b32 v72, v70, s[sgprSrdD:sgprSrdD+3], 0, offen, offset:0 // store D
v_cvt_f16_f32 v[vgprValuC+74], v[vgprValuC+74]     // convert C to fp16
v_cvt_f16_f32 v[vgprValuC+75], v[vgprValuC+75]     // convert C to fp16
v_pack_b32_f16 v74, v[vgprValuC+74], v[vgprValuC+75] // Pack with neighbor
s_lshl_b32  s32, s[sgprStrideD1J], 1               // incToNextRow: Scale by BPE
s_add_u32  s[sgprSrdD+0], s[sgprSrdD+0], s32       // incToNextRow: gra SRD += inc(lower)
s_addc_u32  s[sgprSrdD+1], s[sgprSrdD+1], 0        // incToNextRow: gra SRD += inc(upper)
_buffer_store_b32 v74, v70, s[sgprSrdD:sgprSrdD+3], 0, offen, offset:0 // store D
v_cvt_f16_f32 v[vgprValuC+76], v[vgprValuC+76]     // convert C to fp16
v_cvt_f16_f32 v[vgprValuC+77], v[vgprValuC+77]     // convert C to fp16
v_pack_b32_f16 v76, v[vgprValuC+76], v[vgprValuC+77] // Pack with neighbor
s_lshl_b32  s32, s[sgprStrideD1J], 1               // incToNextRow: Scale by BPE
s_add_u32  s[sgprSrdD+0], s[sgprSrdD+0], s32       // incToNextRow: gra SRD += inc(lower)
s_addc_u32  s[sgprSrdD+1], s[sgprSrdD+1], 0        // incToNextRow: gra SRD += inc(upper)
	;; [unrolled: 7-line block ×7, first 2 shown]
_buffer_store_b32 v86, v70, s[sgprSrdD:sgprSrdD+3], 0, offen, offset:0 // store D
v_cvt_f16_f32 v[vgprValuC+88], v[vgprValuC+88]     // convert C to fp16
v_cvt_f16_f32 v[vgprValuC+89], v[vgprValuC+89]     // convert C to fp16
v_pack_b32_f16 v88, v[vgprValuC+88], v[vgprValuC+89] // Pack with neighbor
s_mul_i32 s32, s[sgprStrideD1J], 18                // scale StrideD *= numRows(9) * bpe
s_add_u32  s[sgprSrdD+0], s[sgprSrdD+0], s32       // incToNextRow: gra SRD += inc(lower)
s_addc_u32  s[sgprSrdD+1], s[sgprSrdD+1], 0        // incToNextRow: gra SRD += inc(upper)
_buffer_store_b32 v88, v70, s[sgprSrdD:sgprSrdD+3], 0, offen, offset:0 // store D
v_cvt_f16_f32 v[vgprValuC+90], v[vgprValuC+90]     // convert C to fp16
v_cvt_f16_f32 v[vgprValuC+91], v[vgprValuC+91]     // convert C to fp16
v_pack_b32_f16 v90, v[vgprValuC+90], v[vgprValuC+91] // Pack with neighbor
s_lshl_b32  s32, s[sgprStrideD1J], 1               // incToNextRow: Scale by BPE
s_add_u32  s[sgprSrdD+0], s[sgprSrdD+0], s32       // incToNextRow: gra SRD += inc(lower)
s_addc_u32  s[sgprSrdD+1], s[sgprSrdD+1], 0        // incToNextRow: gra SRD += inc(upper)
_buffer_store_b32 v90, v70, s[sgprSrdD:sgprSrdD+3], 0, offen, offset:0 // store D
v_cvt_f16_f32 v[vgprValuC+92], v[vgprValuC+92]     // convert C to fp16
v_cvt_f16_f32 v[vgprValuC+93], v[vgprValuC+93]     // convert C to fp16
v_pack_b32_f16 v92, v[vgprValuC+92], v[vgprValuC+93] // Pack with neighbor
s_lshl_b32  s32, s[sgprStrideD1J], 1               // incToNextRow: Scale by BPE
s_add_u32  s[sgprSrdD+0], s[sgprSrdD+0], s32       // incToNextRow: gra SRD += inc(lower)
s_addc_u32  s[sgprSrdD+1], s[sgprSrdD+1], 0        // incToNextRow: gra SRD += inc(upper)
_buffer_store_b32 v92, v70, s[sgprSrdD:sgprSrdD+3], 0, offen, offset:0 // store D
v_cvt_f16_f32 v[vgprValuC+94], v[vgprValuC+94]     // convert C to fp16
v_cvt_f16_f32 v[vgprValuC+95], v[vgprValuC+95]     // convert C to fp16
v_pack_b32_f16 v94, v[vgprValuC+94], v[vgprValuC+95] // Pack with neighbor
s_lshl_b32  s32, s[sgprStrideD1J], 1               // incToNextRow: Scale by BPE
s_add_u32  s[sgprSrdD+0], s[sgprSrdD+0], s32       // incToNextRow: gra SRD += inc(lower)
s_addc_u32  s[sgprSrdD+1], s[sgprSrdD+1], 0        // incToNextRow: gra SRD += inc(upper)
_buffer_store_b32 v94, v70, s[sgprSrdD:sgprSrdD+3], 0, offen, offset:0 // store D
v_cvt_f16_f32 v[vgprValuC+96], v[vgprValuC+96]     // convert C to fp16
v_cvt_f16_f32 v[vgprValuC+97], v[vgprValuC+97]     // convert C to fp16
v_pack_b32_f16 v96, v[vgprValuC+96], v[vgprValuC+97] // Pack with neighbor
s_lshl_b32  s32, s[sgprStrideD1J], 1               // incToNextRow: Scale by BPE
s_add_u32  s[sgprSrdD+0], s[sgprSrdD+0], s32       // incToNextRow: gra SRD += inc(lower)
s_addc_u32  s[sgprSrdD+1], s[sgprSrdD+1], 0        // incToNextRow: gra SRD += inc(upper)
_buffer_store_b32 v96, v70, s[sgprSrdD:sgprSrdD+3], 0, offen, offset:0 // store D
v_cvt_f16_f32 v[vgprValuC+98], v[vgprValuC+98]     // convert C to fp16
v_cvt_f16_f32 v[vgprValuC+99], v[vgprValuC+99]     // convert C to fp16
v_pack_b32_f16 v98, v[vgprValuC+98], v[vgprValuC+99] // Pack with neighbor
s_lshl_b32  s32, s[sgprStrideD1J], 1               // incToNextRow: Scale by BPE
s_add_u32  s[sgprSrdD+0], s[sgprSrdD+0], s32       // incToNextRow: gra SRD += inc(lower)
s_addc_u32  s[sgprSrdD+1], s[sgprSrdD+1], 0        // incToNextRow: gra SRD += inc(upper)
_buffer_store_b32 v98, v70, s[sgprSrdD:sgprSrdD+3], 0, offen, offset:0 // store D
v_cvt_f16_f32 v[vgprValuC+100], v[vgprValuC+100]   // convert C to fp16
v_cvt_f16_f32 v[vgprValuC+101], v[vgprValuC+101]   // convert C to fp16
v_pack_b32_f16 v100, v[vgprValuC+100], v[vgprValuC+101] // Pack with neighbor
s_lshl_b32  s32, s[sgprStrideD1J], 1               // incToNextRow: Scale by BPE
s_add_u32  s[sgprSrdD+0], s[sgprSrdD+0], s32       // incToNextRow: gra SRD += inc(lower)
s_addc_u32  s[sgprSrdD+1], s[sgprSrdD+1], 0        // incToNextRow: gra SRD += inc(upper)
_buffer_store_b32 v100, v70, s[sgprSrdD:sgprSrdD+3], 0, offen, offset:0 // store D
v_cvt_f16_f32 v[vgprValuC+102], v[vgprValuC+102]   // convert C to fp16
v_cvt_f16_f32 v[vgprValuC+103], v[vgprValuC+103]   // convert C to fp16
v_pack_b32_f16 v102, v[vgprValuC+102], v[vgprValuC+103] // Pack with neighbor
s_lshl_b32  s32, s[sgprStrideD1J], 1               // incToNextRow: Scale by BPE
s_add_u32  s[sgprSrdD+0], s[sgprSrdD+0], s32       // incToNextRow: gra SRD += inc(lower)
s_addc_u32  s[sgprSrdD+1], s[sgprSrdD+1], 0        // incToNextRow: gra SRD += inc(upper)
_buffer_store_b32 v102, v70, s[sgprSrdD:sgprSrdD+3], 0, offen, offset:0 // store D
v_cvt_f16_f32 v[vgprValuC+104], v[vgprValuC+104]   // convert C to fp16
v_cvt_f16_f32 v[vgprValuC+105], v[vgprValuC+105]   // convert C to fp16
v_pack_b32_f16 v104, v[vgprValuC+104], v[vgprValuC+105] // Pack with neighbor
s_mul_i32 s32, s[sgprStrideD1J], 18                // scale StrideD *= numRows(9) * bpe
s_add_u32  s[sgprSrdD+0], s[sgprSrdD+0], s32       // incToNextRow: gra SRD += inc(lower)
s_addc_u32  s[sgprSrdD+1], s[sgprSrdD+1], 0        // incToNextRow: gra SRD += inc(upper)
_buffer_store_b32 v104, v70, s[sgprSrdD:sgprSrdD+3], 0, offen, offset:0 // store D
v_cvt_f16_f32 v[vgprValuC+106], v[vgprValuC+106]   // convert C to fp16
v_cvt_f16_f32 v[vgprValuC+107], v[vgprValuC+107]   // convert C to fp16
v_pack_b32_f16 v106, v[vgprValuC+106], v[vgprValuC+107] // Pack with neighbor
s_lshl_b32  s32, s[sgprStrideD1J], 1               // incToNextRow: Scale by BPE
s_add_u32  s[sgprSrdD+0], s[sgprSrdD+0], s32       // incToNextRow: gra SRD += inc(lower)
s_addc_u32  s[sgprSrdD+1], s[sgprSrdD+1], 0        // incToNextRow: gra SRD += inc(upper)
_buffer_store_b32 v106, v70, s[sgprSrdD:sgprSrdD+3], 0, offen, offset:0 // store D
v_cvt_f16_f32 v[vgprValuC+108], v[vgprValuC+108]   // convert C to fp16
v_cvt_f16_f32 v[vgprValuC+109], v[vgprValuC+109]   // convert C to fp16
v_pack_b32_f16 v108, v[vgprValuC+108], v[vgprValuC+109] // Pack with neighbor
s_lshl_b32  s32, s[sgprStrideD1J], 1               // incToNextRow: Scale by BPE
	;; [unrolled: 7-line block ×7, first 2 shown]
s_add_u32  s[sgprSrdD+0], s[sgprSrdD+0], s32       // incToNextRow: gra SRD += inc(lower)
s_addc_u32  s[sgprSrdD+1], s[sgprSrdD+1], 0        // incToNextRow: gra SRD += inc(upper)
_buffer_store_b32 v118, v70, s[sgprSrdD:sgprSrdD+3], 0, offen, offset:0 // store D
v_cvt_f16_f32 v[vgprValuC+120], v[vgprValuC+120]   // convert C to fp16
v_cvt_f16_f32 v[vgprValuC+121], v[vgprValuC+121]   // convert C to fp16
v_pack_b32_f16 v120, v[vgprValuC+120], v[vgprValuC+121] // Pack with neighbor
s_mul_i32 s32, s[sgprStrideD1J], 18                // scale StrideD *= numRows(9) * bpe
s_add_u32  s[sgprSrdD+0], s[sgprSrdD+0], s32       // incToNextRow: gra SRD += inc(lower)
s_addc_u32  s[sgprSrdD+1], s[sgprSrdD+1], 0        // incToNextRow: gra SRD += inc(upper)
_buffer_store_b32 v120, v70, s[sgprSrdD:sgprSrdD+3], 0, offen, offset:0 // store D
v_cvt_f16_f32 v[vgprValuC+122], v[vgprValuC+122]   // convert C to fp16
v_cvt_f16_f32 v[vgprValuC+123], v[vgprValuC+123]   // convert C to fp16
v_pack_b32_f16 v122, v[vgprValuC+122], v[vgprValuC+123] // Pack with neighbor
s_lshl_b32  s32, s[sgprStrideD1J], 1               // incToNextRow: Scale by BPE
s_add_u32  s[sgprSrdD+0], s[sgprSrdD+0], s32       // incToNextRow: gra SRD += inc(lower)
s_addc_u32  s[sgprSrdD+1], s[sgprSrdD+1], 0        // incToNextRow: gra SRD += inc(upper)
_buffer_store_b32 v122, v70, s[sgprSrdD:sgprSrdD+3], 0, offen, offset:0 // store D
v_cvt_f16_f32 v[vgprValuC+130], v[vgprValuC+130]   // convert C to fp16
v_cvt_f16_f32 v[vgprValuC+131], v[vgprValuC+131]   // convert C to fp16
v_pack_b32_f16 v130, v[vgprValuC+130], v[vgprValuC+131] // Pack with neighbor
s_lshl_b32  s32, s[sgprStrideD1J], 1               // incToNextRow: Scale by BPE
	;; [unrolled: 7-line block ×7, first 2 shown]
s_add_u32  s[sgprSrdD+0], s[sgprSrdD+0], s32       // incToNextRow: gra SRD += inc(lower)
s_addc_u32  s[sgprSrdD+1], s[sgprSrdD+1], 0        // incToNextRow: gra SRD += inc(upper)
_buffer_store_b32 v140, v70, s[sgprSrdD:sgprSrdD+3], 0, offen, offset:0 // store D
s_nop 0                                            // 1 wait state required when next inst writes vgprs held by previous dwordx4 store inst
s_branch label_GW_End_67                           // jump to end
GW_B0_E1_59:

/* edge=1, allocate 6 sgpr. perBatchTmpS=4 perBatchMaskS=2 perElementMaskS=0 elementsPerBatch=46 */
/* optSingleColVgpr=0 optSharedColVgpr=0 optSGPRUsage=BufferLoad_Edge_Mask optSrdIncForRow=0 */

/******************************************/
/* Global Write Alpha Edge Batch #0 (d1,d0,vc1,vc0) = */
/*    (0,0,0,0:vw1); (0,0,0,1:vw1); (0,0,1,0:vw1); (0,0,1,1:vw1); (0,0,2,0:vw1); (0,0,2,1:vw1); (0,0,3,0:vw1); (0,0,3,1:vw1); (0,0,4,0:vw1); (0,0,4,1:vw1); (0,0,5,0:vw1); (0,0,5,1:vw1); (0,0,6,0:vw1); (0,0,6,1:vw1); (0,0,7,0:vw1); (0,0,7,1:vw1); (1,0,0,0:vw1); (1,0,0,1:vw1); (1,0,1,0:vw1); (1,0,1,1:vw1); (1,0,2,0:vw1); (1,0,2,1:vw1); (1,0,3,0:vw1); (1,0,3,1:vw1); (1,0,4,0:vw1); (1,0,4,1:vw1); (1,0,5,0:vw1); (1,0,5,1:vw1); (1,0,6,0:vw1); (1,0,6,1:vw1); (1,0,7,0:vw1); (1,0,7,1:vw1); (2,0,0,0:vw1); (2,0,0,1:vw1); (2,0,1,0:vw1); (2,0,1,1:vw1); (2,0,2,0:vw1); (2,0,2,1:vw1); (2,0,3,0:vw1); (2,0,3,1:vw1); (2,0,4,0:vw1); (2,0,4,1:vw1); (2,0,5,0:vw1); (2,0,5,1:vw1); (2,0,6,0:vw1); (2,0,6,1:vw1) */
/******************************************/

/* calc coords, apply mask, and issue loads (if necessary) */
/* (d1,vc1,d0,vc0)=(0,0,0,0) */
v_cmp_lt_u32 s[52:53], v64, s[sgprSizeI]           // coord0 < size0
v_cmp_lt_u32 s[56:57], v65, s[sgprSizeJ]           // coord1 < size1
s_and_b64 s[56:57], s[52:53], s[56:57]             // in0 && in1
_v_add_lshl_u32 v70, v67, v64, 0x1                 // scaleToBpe: accumulate d0 lower and *= bpe into Cin addr
v_cndmask_b32 v70, -1, v70, s[56:57]               // LDD clip if OOB. offset
/* (d1,vc1,d0,vc0)=(0,0,0,1) */
_v_add_co_u32 v68, vcc, v64, 1                     // coord0.1: coord0 += d0*sg0*VW + vc0
v_cmp_lt_u32 s[52:53], v68, s[sgprSizeI]           // coord0 < size0
v_cmp_lt_u32 s[56:57], v65, s[sgprSizeJ]           // coord1 < size1
s_and_b64 s[56:57], s[52:53], s[56:57]             // in0 && in1
_v_add_lshl_u32 v72, v67, v68, 0x1                 // scaleToBpe: accumulate d0 lower and *= bpe into Cin addr
v_cndmask_b32 v72, -1, v72, s[56:57]               // LDD clip if OOB. offset
/* (d1,vc1,d0,vc0)=(0,1,0,0) */
_v_add_co_u32 v65, vcc, v65, 1                     // coord1.1: coord1Vgpr += d1*sg1*VW + vc1

/* Fix for UseInitialStridesCD, emitAddressSetupCode */
_v_add_u32 v66, v66, s[sgprStrideC1J]              // ROWINC- Move cinRowPtr to next row
_v_add_u32 v67, v67, s[sgprStrideD1J]              // Move coutRowPtr to next row
v_cmp_lt_u32 s[52:53], v64, s[sgprSizeI]           // coord0 < size0
v_cmp_lt_u32 s[56:57], v65, s[sgprSizeJ]           // coord1 < size1
s_and_b64 s[56:57], s[52:53], s[56:57]             // in0 && in1
_v_add_lshl_u32 v74, v67, v64, 0x1                 // scaleToBpe: accumulate d0 lower and *= bpe into Cin addr
v_cndmask_b32 v74, -1, v74, s[56:57]               // LDD clip if OOB. offset
/* (d1,vc1,d0,vc0)=(0,1,0,1) */
_v_add_co_u32 v68, vcc, v64, 1                     // coord0.1: coord0 += d0*sg0*VW + vc0
v_cmp_lt_u32 s[52:53], v68, s[sgprSizeI]           // coord0 < size0
v_cmp_lt_u32 s[56:57], v65, s[sgprSizeJ]           // coord1 < size1
s_and_b64 s[56:57], s[52:53], s[56:57]             // in0 && in1
_v_add_lshl_u32 v76, v67, v68, 0x1                 // scaleToBpe: accumulate d0 lower and *= bpe into Cin addr
v_cndmask_b32 v76, -1, v76, s[56:57]               // LDD clip if OOB. offset
/* (d1,vc1,d0,vc0)=(0,2,0,0) */
_v_add_co_u32 v65, vcc, v65, 1                     // coord1.1: coord1Vgpr += d1*sg1*VW + vc1

/* Fix for UseInitialStridesCD, emitAddressSetupCode */
_v_add_u32 v66, v66, s[sgprStrideC1J]              // ROWINC- Move cinRowPtr to next row
_v_add_u32 v67, v67, s[sgprStrideD1J]              // Move coutRowPtr to next row
	;; [unrolled: 18-line block ×7, first 2 shown]
v_cmp_lt_u32 s[52:53], v64, s[sgprSizeI]           // coord0 < size0
v_cmp_lt_u32 s[56:57], v65, s[sgprSizeJ]           // coord1 < size1
s_and_b64 s[56:57], s[52:53], s[56:57]             // in0 && in1
_v_add_lshl_u32 v98, v67, v64, 0x1                 // scaleToBpe: accumulate d0 lower and *= bpe into Cin addr
v_cndmask_b32 v98, -1, v98, s[56:57]               // LDD clip if OOB. offset
/* (d1,vc1,d0,vc0)=(0,7,0,1) */
_v_add_co_u32 v68, vcc, v64, 1                     // coord0.1: coord0 += d0*sg0*VW + vc0
v_cmp_lt_u32 s[52:53], v68, s[sgprSizeI]           // coord0 < size0
v_cmp_lt_u32 s[56:57], v65, s[sgprSizeJ]           // coord1 < size1
s_and_b64 s[56:57], s[52:53], s[56:57]             // in0 && in1
_v_add_lshl_u32 v100, v67, v68, 0x1                // scaleToBpe: accumulate d0 lower and *= bpe into Cin addr
v_cndmask_b32 v100, -1, v100, s[56:57]             // LDD clip if OOB. offset
/* (d1,vc1,d0,vc0)=(1,0,0,0) */
_v_add_co_u32 v65, vcc, v65, 9                     // coord1.1: coord1Vgpr += d1*sg1*VW + vc1

/* Fix for UseInitialStridesCD, emitAddressSetupCode */
s_mul_i32 s52, s[sgprStrideC1J], 9                 // scale stride
_v_add_u32 v66, v66, s52                           // ROWINC- Move cinRowPtr to next row
s_mul_i32 s52, s[sgprStrideD1J], 9                 // scale stride
_v_add_u32 v67, v67, s52                           // Move coutRowPtr to next row
v_cmp_lt_u32 s[52:53], v64, s[sgprSizeI]           // coord0 < size0
v_cmp_lt_u32 s[56:57], v65, s[sgprSizeJ]           // coord1 < size1
s_and_b64 s[56:57], s[52:53], s[56:57]             // in0 && in1
_v_add_lshl_u32 v102, v67, v64, 0x1                // scaleToBpe: accumulate d0 lower and *= bpe into Cin addr
v_cndmask_b32 v102, -1, v102, s[56:57]             // LDD clip if OOB. offset
/* (d1,vc1,d0,vc0)=(1,0,0,1) */
_v_add_co_u32 v68, vcc, v64, 1                     // coord0.1: coord0 += d0*sg0*VW + vc0
v_cmp_lt_u32 s[52:53], v68, s[sgprSizeI]           // coord0 < size0
v_cmp_lt_u32 s[56:57], v65, s[sgprSizeJ]           // coord1 < size1
s_and_b64 s[56:57], s[52:53], s[56:57]             // in0 && in1
_v_add_lshl_u32 v104, v67, v68, 0x1                // scaleToBpe: accumulate d0 lower and *= bpe into Cin addr
v_cndmask_b32 v104, -1, v104, s[56:57]             // LDD clip if OOB. offset
/* (d1,vc1,d0,vc0)=(1,1,0,0) */
_v_add_co_u32 v65, vcc, v65, 1                     // coord1.1: coord1Vgpr += d1*sg1*VW + vc1

/* Fix for UseInitialStridesCD, emitAddressSetupCode */
_v_add_u32 v66, v66, s[sgprStrideC1J]              // ROWINC- Move cinRowPtr to next row
_v_add_u32 v67, v67, s[sgprStrideD1J]              // Move coutRowPtr to next row
v_cmp_lt_u32 s[52:53], v64, s[sgprSizeI]           // coord0 < size0
v_cmp_lt_u32 s[56:57], v65, s[sgprSizeJ]           // coord1 < size1
s_and_b64 s[56:57], s[52:53], s[56:57]             // in0 && in1
_v_add_lshl_u32 v106, v67, v64, 0x1                // scaleToBpe: accumulate d0 lower and *= bpe into Cin addr
v_cndmask_b32 v106, -1, v106, s[56:57]             // LDD clip if OOB. offset
/* (d1,vc1,d0,vc0)=(1,1,0,1) */
_v_add_co_u32 v68, vcc, v64, 1                     // coord0.1: coord0 += d0*sg0*VW + vc0
v_cmp_lt_u32 s[52:53], v68, s[sgprSizeI]           // coord0 < size0
v_cmp_lt_u32 s[56:57], v65, s[sgprSizeJ]           // coord1 < size1
s_and_b64 s[56:57], s[52:53], s[56:57]             // in0 && in1
_v_add_lshl_u32 v108, v67, v68, 0x1                // scaleToBpe: accumulate d0 lower and *= bpe into Cin addr
v_cndmask_b32 v108, -1, v108, s[56:57]             // LDD clip if OOB. offset
/* (d1,vc1,d0,vc0)=(1,2,0,0) */
_v_add_co_u32 v65, vcc, v65, 1                     // coord1.1: coord1Vgpr += d1*sg1*VW + vc1

/* Fix for UseInitialStridesCD, emitAddressSetupCode */
_v_add_u32 v66, v66, s[sgprStrideC1J]              // ROWINC- Move cinRowPtr to next row
_v_add_u32 v67, v67, s[sgprStrideD1J]              // Move coutRowPtr to next row
	;; [unrolled: 18-line block ×7, first 2 shown]
v_cmp_lt_u32 s[52:53], v64, s[sgprSizeI]           // coord0 < size0
v_cmp_lt_u32 s[56:57], v65, s[sgprSizeJ]           // coord1 < size1
s_and_b64 s[56:57], s[52:53], s[56:57]             // in0 && in1
_v_add_lshl_u32 v135, v67, v64, 0x1                // scaleToBpe: accumulate d0 lower and *= bpe into Cin addr
v_cndmask_b32 v135, -1, v135, s[56:57]             // LDD clip if OOB. offset
/* (d1,vc1,d0,vc0)=(1,7,0,1) */
_v_add_co_u32 v68, vcc, v64, 1                     // coord0.1: coord0 += d0*sg0*VW + vc0
v_cmp_lt_u32 s[52:53], v68, s[sgprSizeI]           // coord0 < size0
v_cmp_lt_u32 s[56:57], v65, s[sgprSizeJ]           // coord1 < size1
s_and_b64 s[56:57], s[52:53], s[56:57]             // in0 && in1
_v_add_lshl_u32 v137, v67, v68, 0x1                // scaleToBpe: accumulate d0 lower and *= bpe into Cin addr
v_cndmask_b32 v137, -1, v137, s[56:57]             // LDD clip if OOB. offset
/* (d1,vc1,d0,vc0)=(2,0,0,0) */
_v_add_co_u32 v65, vcc, v65, 9                     // coord1.1: coord1Vgpr += d1*sg1*VW + vc1

/* Fix for UseInitialStridesCD, emitAddressSetupCode */
s_mul_i32 s52, s[sgprStrideC1J], 9                 // scale stride
_v_add_u32 v66, v66, s52                           // ROWINC- Move cinRowPtr to next row
s_mul_i32 s52, s[sgprStrideD1J], 9                 // scale stride
_v_add_u32 v67, v67, s52                           // Move coutRowPtr to next row
v_cmp_lt_u32 s[52:53], v64, s[sgprSizeI]           // coord0 < size0
v_cmp_lt_u32 s[56:57], v65, s[sgprSizeJ]           // coord1 < size1
s_and_b64 s[56:57], s[52:53], s[56:57]             // in0 && in1
_v_add_lshl_u32 v139, v67, v64, 0x1                // scaleToBpe: accumulate d0 lower and *= bpe into Cin addr
v_cndmask_b32 v139, -1, v139, s[56:57]             // LDD clip if OOB. offset
/* (d1,vc1,d0,vc0)=(2,0,0,1) */
_v_add_co_u32 v68, vcc, v64, 1                     // coord0.1: coord0 += d0*sg0*VW + vc0
v_cmp_lt_u32 s[52:53], v68, s[sgprSizeI]           // coord0 < size0
v_cmp_lt_u32 s[56:57], v65, s[sgprSizeJ]           // coord1 < size1
s_and_b64 s[56:57], s[52:53], s[56:57]             // in0 && in1
_v_add_lshl_u32 v141, v67, v68, 0x1                // scaleToBpe: accumulate d0 lower and *= bpe into Cin addr
v_cndmask_b32 v141, -1, v141, s[56:57]             // LDD clip if OOB. offset
/* (d1,vc1,d0,vc0)=(2,1,0,0) */
_v_add_co_u32 v65, vcc, v65, 1                     // coord1.1: coord1Vgpr += d1*sg1*VW + vc1

/* Fix for UseInitialStridesCD, emitAddressSetupCode */
_v_add_u32 v66, v66, s[sgprStrideC1J]              // ROWINC- Move cinRowPtr to next row
_v_add_u32 v67, v67, s[sgprStrideD1J]              // Move coutRowPtr to next row
v_cmp_lt_u32 s[52:53], v64, s[sgprSizeI]           // coord0 < size0
v_cmp_lt_u32 s[56:57], v65, s[sgprSizeJ]           // coord1 < size1
s_and_b64 s[56:57], s[52:53], s[56:57]             // in0 && in1
_v_add_lshl_u32 v143, v67, v64, 0x1                // scaleToBpe: accumulate d0 lower and *= bpe into Cin addr
v_cndmask_b32 v143, -1, v143, s[56:57]             // LDD clip if OOB. offset
/* (d1,vc1,d0,vc0)=(2,1,0,1) */
_v_add_co_u32 v68, vcc, v64, 1                     // coord0.1: coord0 += d0*sg0*VW + vc0
v_cmp_lt_u32 s[52:53], v68, s[sgprSizeI]           // coord0 < size0
v_cmp_lt_u32 s[56:57], v65, s[sgprSizeJ]           // coord1 < size1
s_and_b64 s[56:57], s[52:53], s[56:57]             // in0 && in1
_v_add_lshl_u32 v145, v67, v68, 0x1                // scaleToBpe: accumulate d0 lower and *= bpe into Cin addr
v_cndmask_b32 v145, -1, v145, s[56:57]             // LDD clip if OOB. offset
/* (d1,vc1,d0,vc0)=(2,2,0,0) */
_v_add_co_u32 v65, vcc, v65, 1                     // coord1.1: coord1Vgpr += d1*sg1*VW + vc1

/* Fix for UseInitialStridesCD, emitAddressSetupCode */
_v_add_u32 v66, v66, s[sgprStrideC1J]              // ROWINC- Move cinRowPtr to next row
_v_add_u32 v67, v67, s[sgprStrideD1J]              // Move coutRowPtr to next row
	;; [unrolled: 18-line block ×6, first 2 shown]
v_cmp_lt_u32 s[52:53], v64, s[sgprSizeI]           // coord0 < size0
v_cmp_lt_u32 s[56:57], v65, s[sgprSizeJ]           // coord1 < size1
s_and_b64 s[56:57], s[52:53], s[56:57]             // in0 && in1
_v_add_lshl_u32 v163, v67, v64, 0x1                // scaleToBpe: accumulate d0 lower and *= bpe into Cin addr
v_cndmask_b32 v163, -1, v163, s[56:57]             // LDD clip if OOB. offset
/* (d1,vc1,d0,vc0)=(2,6,0,1) */
_v_add_co_u32 v68, vcc, v64, 1                     // coord0.1: coord0 += d0*sg0*VW + vc0
v_cmp_lt_u32 s[52:53], v68, s[sgprSizeI]           // coord0 < size0
v_cmp_lt_u32 s[56:57], v65, s[sgprSizeJ]           // coord1 < size1
s_and_b64 s[56:57], s[52:53], s[56:57]             // in0 && in1
_v_add_lshl_u32 v165, v67, v68, 0x1                // scaleToBpe: accumulate d0 lower and *= bpe into Cin addr
v_cndmask_b32 v165, -1, v165, s[56:57]             // LDD clip if OOB. offset

/* rC *= alpha batchElements=[(0, 0, 0, 0), (0, 0, 0, 1), (0, 0, 1, 0), (0, 0, 1, 1), (0, 0, 2, 0), (0, 0, 2, 1), (0, 0, 3, 0), (0, 0, 3, 1), (0, 0, 4, 0), (0, 0, 4, 1), (0, 0, 5, 0), (0, 0, 5, 1), (0, 0, 6, 0), (0, 0, 6, 1), (0, 0, 7, 0), (0, 0, 7, 1), (1, 0, 0, 0), (1, 0, 0, 1), (1, 0, 1, 0), (1, 0, 1, 1), (1, 0, 2, 0), (1, 0, 2, 1), (1, 0, 3, 0), (1, 0, 3, 1), (1, 0, 4, 0), (1, 0, 4, 1), (1, 0, 5, 0), (1, 0, 5, 1), (1, 0, 6, 0), (1, 0, 6, 1), (1, 0, 7, 0), (1, 0, 7, 1), (2, 0, 0, 0), (2, 0, 0, 1), (2, 0, 1, 0), (2, 0, 1, 1), (2, 0, 2, 0), (2, 0, 2, 1), (2, 0, 3, 0), (2, 0, 3, 1), (2, 0, 4, 0), (2, 0, 4, 1), (2, 0, 5, 0), (2, 0, 5, 1), (2, 0, 6, 0), (2, 0, 6, 1)] */
v_mul_f32 v[vgprValuC+71], s[sgprAlpha], v[vgprValuC+0] // Multiply MI out reg with alpha
v_mul_f32 v[vgprValuC+73], s[sgprAlpha], v[vgprValuC+16] // Multiply MI out reg with alpha
	;; [unrolled: 1-line block ×46, first 2 shown]

/* apply mask, calc new C and issue writes */
v_cvt_f16_f32 v[vgprValuC+71], v[vgprValuC+71]     // convert C to fp16
_buffer_store_b16 v71, v70, s[sgprSrdD:sgprSrdD+3], 0, offen, offset:0 // store D
v_cvt_f16_f32 v[vgprValuC+73], v[vgprValuC+73]     // convert C to fp16
_buffer_store_b16 v73, v72, s[sgprSrdD:sgprSrdD+3], 0, offen, offset:0 // store D
	;; [unrolled: 2-line block ×15, first 2 shown]
v_cvt_f16_f32 v[vgprValuC+101], v[vgprValuC+101]   // convert C to fp16
_buffer_store_b16 v101, v100, s[sgprSrdD:sgprSrdD+3], 0, offen, offset:0 // store D
v_cvt_f16_f32 v[vgprValuC+103], v[vgprValuC+103]   // convert C to fp16
_buffer_store_b16 v103, v102, s[sgprSrdD:sgprSrdD+3], 0, offen, offset:0 // store D
	;; [unrolled: 2-line block ×31, first 2 shown]
s_nop 0                                            // 1 wait state required when next inst writes vgprs held by previous dwordx4 store inst
/* optSingleColVgpr=0 optSharedColVgpr=0 optSGPRUsage=BufferLoad_Edge_Mask optSrdIncForRow=0 */

/******************************************/
/* Global Write Alpha Edge Batch #1 (d1,d0,vc1,vc0) = */
/*    (2,0,7,0:vw1); (2,0,7,1:vw1); (3,0,0,0:vw1); (3,0,0,1:vw1); (3,0,1,0:vw1); (3,0,1,1:vw1); (3,0,2,0:vw1); (3,0,2,1:vw1); (3,0,3,0:vw1); (3,0,3,1:vw1); (3,0,4,0:vw1); (3,0,4,1:vw1); (3,0,5,0:vw1); (3,0,5,1:vw1); (3,0,6,0:vw1); (3,0,6,1:vw1); (3,0,7,0:vw1); (3,0,7,1:vw1) */
/******************************************/

/* calc coords, apply mask, and issue loads (if necessary) */
/* (d1,vc1,d0,vc0)=(2,7,0,0) */
_v_add_co_u32 v65, vcc, v65, 1                     // coord1.1: coord1Vgpr += d1*sg1*VW + vc1

/* Fix for UseInitialStridesCD, emitAddressSetupCode */
_v_add_u32 v66, v66, s[sgprStrideC1J]              // ROWINC- Move cinRowPtr to next row
_v_add_u32 v67, v67, s[sgprStrideD1J]              // Move coutRowPtr to next row
v_cmp_lt_u32 s[52:53], v64, s[sgprSizeI]           // coord0 < size0
v_cmp_lt_u32 s[56:57], v65, s[sgprSizeJ]           // coord1 < size1
s_and_b64 s[56:57], s[52:53], s[56:57]             // in0 && in1
_v_add_lshl_u32 v70, v67, v64, 0x1                 // scaleToBpe: accumulate d0 lower and *= bpe into Cin addr
v_cndmask_b32 v70, -1, v70, s[56:57]               // LDD clip if OOB. offset
/* (d1,vc1,d0,vc0)=(2,7,0,1) */
_v_add_co_u32 v68, vcc, v64, 1                     // coord0.1: coord0 += d0*sg0*VW + vc0
v_cmp_lt_u32 s[52:53], v68, s[sgprSizeI]           // coord0 < size0
v_cmp_lt_u32 s[56:57], v65, s[sgprSizeJ]           // coord1 < size1
s_and_b64 s[56:57], s[52:53], s[56:57]             // in0 && in1
_v_add_lshl_u32 v72, v67, v68, 0x1                 // scaleToBpe: accumulate d0 lower and *= bpe into Cin addr
v_cndmask_b32 v72, -1, v72, s[56:57]               // LDD clip if OOB. offset
/* (d1,vc1,d0,vc0)=(3,0,0,0) */
_v_add_co_u32 v65, vcc, v65, 9                     // coord1.1: coord1Vgpr += d1*sg1*VW + vc1

/* Fix for UseInitialStridesCD, emitAddressSetupCode */
s_mul_i32 s52, s[sgprStrideC1J], 9                 // scale stride
_v_add_u32 v66, v66, s52                           // ROWINC- Move cinRowPtr to next row
s_mul_i32 s52, s[sgprStrideD1J], 9                 // scale stride
_v_add_u32 v67, v67, s52                           // Move coutRowPtr to next row
v_cmp_lt_u32 s[52:53], v64, s[sgprSizeI]           // coord0 < size0
v_cmp_lt_u32 s[56:57], v65, s[sgprSizeJ]           // coord1 < size1
s_and_b64 s[56:57], s[52:53], s[56:57]             // in0 && in1
_v_add_lshl_u32 v74, v67, v64, 0x1                 // scaleToBpe: accumulate d0 lower and *= bpe into Cin addr
v_cndmask_b32 v74, -1, v74, s[56:57]               // LDD clip if OOB. offset
/* (d1,vc1,d0,vc0)=(3,0,0,1) */
_v_add_co_u32 v68, vcc, v64, 1                     // coord0.1: coord0 += d0*sg0*VW + vc0
v_cmp_lt_u32 s[52:53], v68, s[sgprSizeI]           // coord0 < size0
v_cmp_lt_u32 s[56:57], v65, s[sgprSizeJ]           // coord1 < size1
s_and_b64 s[56:57], s[52:53], s[56:57]             // in0 && in1
_v_add_lshl_u32 v76, v67, v68, 0x1                 // scaleToBpe: accumulate d0 lower and *= bpe into Cin addr
v_cndmask_b32 v76, -1, v76, s[56:57]               // LDD clip if OOB. offset
/* (d1,vc1,d0,vc0)=(3,1,0,0) */
_v_add_co_u32 v65, vcc, v65, 1                     // coord1.1: coord1Vgpr += d1*sg1*VW + vc1

/* Fix for UseInitialStridesCD, emitAddressSetupCode */
_v_add_u32 v66, v66, s[sgprStrideC1J]              // ROWINC- Move cinRowPtr to next row
_v_add_u32 v67, v67, s[sgprStrideD1J]              // Move coutRowPtr to next row
v_cmp_lt_u32 s[52:53], v64, s[sgprSizeI]           // coord0 < size0
v_cmp_lt_u32 s[56:57], v65, s[sgprSizeJ]           // coord1 < size1
s_and_b64 s[56:57], s[52:53], s[56:57]             // in0 && in1
_v_add_lshl_u32 v78, v67, v64, 0x1                 // scaleToBpe: accumulate d0 lower and *= bpe into Cin addr
v_cndmask_b32 v78, -1, v78, s[56:57]               // LDD clip if OOB. offset
/* (d1,vc1,d0,vc0)=(3,1,0,1) */
_v_add_co_u32 v68, vcc, v64, 1                     // coord0.1: coord0 += d0*sg0*VW + vc0
v_cmp_lt_u32 s[52:53], v68, s[sgprSizeI]           // coord0 < size0
v_cmp_lt_u32 s[56:57], v65, s[sgprSizeJ]           // coord1 < size1
s_and_b64 s[56:57], s[52:53], s[56:57]             // in0 && in1
_v_add_lshl_u32 v80, v67, v68, 0x1                 // scaleToBpe: accumulate d0 lower and *= bpe into Cin addr
v_cndmask_b32 v80, -1, v80, s[56:57]               // LDD clip if OOB. offset
/* (d1,vc1,d0,vc0)=(3,2,0,0) */
_v_add_co_u32 v65, vcc, v65, 1                     // coord1.1: coord1Vgpr += d1*sg1*VW + vc1

/* Fix for UseInitialStridesCD, emitAddressSetupCode */
_v_add_u32 v66, v66, s[sgprStrideC1J]              // ROWINC- Move cinRowPtr to next row
_v_add_u32 v67, v67, s[sgprStrideD1J]              // Move coutRowPtr to next row
	;; [unrolled: 18-line block ×6, first 2 shown]
v_cmp_lt_u32 s[52:53], v64, s[sgprSizeI]           // coord0 < size0
v_cmp_lt_u32 s[56:57], v65, s[sgprSizeJ]           // coord1 < size1
s_and_b64 s[56:57], s[52:53], s[56:57]             // in0 && in1
_v_add_lshl_u32 v98, v67, v64, 0x1                 // scaleToBpe: accumulate d0 lower and *= bpe into Cin addr
v_cndmask_b32 v98, -1, v98, s[56:57]               // LDD clip if OOB. offset
/* (d1,vc1,d0,vc0)=(3,6,0,1) */
_v_add_co_u32 v68, vcc, v64, 1                     // coord0.1: coord0 += d0*sg0*VW + vc0
v_cmp_lt_u32 s[52:53], v68, s[sgprSizeI]           // coord0 < size0
v_cmp_lt_u32 s[56:57], v65, s[sgprSizeJ]           // coord1 < size1
s_and_b64 s[56:57], s[52:53], s[56:57]             // in0 && in1
_v_add_lshl_u32 v100, v67, v68, 0x1                // scaleToBpe: accumulate d0 lower and *= bpe into Cin addr
v_cndmask_b32 v100, -1, v100, s[56:57]             // LDD clip if OOB. offset
/* (d1,vc1,d0,vc0)=(3,7,0,0) */
_v_add_co_u32 v65, vcc, v65, 1                     // coord1.1: coord1Vgpr += d1*sg1*VW + vc1

/* Fix for UseInitialStridesCD, emitAddressSetupCode */
_v_add_u32 v66, v66, s[sgprStrideC1J]              // ROWINC- Move cinRowPtr to next row
_v_add_u32 v67, v67, s[sgprStrideD1J]              // Move coutRowPtr to next row
v_cmp_lt_u32 s[52:53], v64, s[sgprSizeI]           // coord0 < size0
v_cmp_lt_u32 s[56:57], v65, s[sgprSizeJ]           // coord1 < size1
s_and_b64 s[56:57], s[52:53], s[56:57]             // in0 && in1
_v_add_lshl_u32 v102, v67, v64, 0x1                // scaleToBpe: accumulate d0 lower and *= bpe into Cin addr
v_cndmask_b32 v102, -1, v102, s[56:57]             // LDD clip if OOB. offset
/* (d1,vc1,d0,vc0)=(3,7,0,1) */
_v_add_co_u32 v68, vcc, v64, 1                     // coord0.1: coord0 += d0*sg0*VW + vc0
v_cmp_lt_u32 s[52:53], v68, s[sgprSizeI]           // coord0 < size0
v_cmp_lt_u32 s[56:57], v65, s[sgprSizeJ]           // coord1 < size1
s_and_b64 s[56:57], s[52:53], s[56:57]             // in0 && in1
_v_add_lshl_u32 v104, v67, v68, 0x1                // scaleToBpe: accumulate d0 lower and *= bpe into Cin addr
v_cndmask_b32 v104, -1, v104, s[56:57]             // LDD clip if OOB. offset

/* rC *= alpha batchElements=[(2, 0, 7, 0), (2, 0, 7, 1), (3, 0, 0, 0), (3, 0, 0, 1), (3, 0, 1, 0), (3, 0, 1, 1), (3, 0, 2, 0), (3, 0, 2, 1), (3, 0, 3, 0), (3, 0, 3, 1), (3, 0, 4, 0), (3, 0, 4, 1), (3, 0, 5, 0), (3, 0, 5, 1), (3, 0, 6, 0), (3, 0, 6, 1), (3, 0, 7, 0), (3, 0, 7, 1)] */
v_mul_f32 v[vgprValuC+71], s[sgprAlpha], v[vgprValuC+43] // Multiply MI out reg with alpha
v_mul_f32 v[vgprValuC+73], s[sgprAlpha], v[vgprValuC+59] // Multiply MI out reg with alpha
v_mul_f32 v[vgprValuC+75], s[sgprAlpha], v[vgprValuC+12] // Multiply MI out reg with alpha
v_mul_f32 v[vgprValuC+77], s[sgprAlpha], v[vgprValuC+28] // Multiply MI out reg with alpha
v_mul_f32 v[vgprValuC+79], s[sgprAlpha], v[vgprValuC+44] // Multiply MI out reg with alpha
v_mul_f32 v[vgprValuC+81], s[sgprAlpha], v[vgprValuC+60] // Multiply MI out reg with alpha
v_mul_f32 v[vgprValuC+83], s[sgprAlpha], v[vgprValuC+13] // Multiply MI out reg with alpha
v_mul_f32 v[vgprValuC+85], s[sgprAlpha], v[vgprValuC+29] // Multiply MI out reg with alpha
v_mul_f32 v[vgprValuC+87], s[sgprAlpha], v[vgprValuC+45] // Multiply MI out reg with alpha
v_mul_f32 v[vgprValuC+89], s[sgprAlpha], v[vgprValuC+61] // Multiply MI out reg with alpha
v_mul_f32 v[vgprValuC+91], s[sgprAlpha], v[vgprValuC+14] // Multiply MI out reg with alpha
v_mul_f32 v[vgprValuC+93], s[sgprAlpha], v[vgprValuC+30] // Multiply MI out reg with alpha
v_mul_f32 v[vgprValuC+95], s[sgprAlpha], v[vgprValuC+46] // Multiply MI out reg with alpha
v_mul_f32 v[vgprValuC+97], s[sgprAlpha], v[vgprValuC+62] // Multiply MI out reg with alpha
v_mul_f32 v[vgprValuC+99], s[sgprAlpha], v[vgprValuC+15] // Multiply MI out reg with alpha
v_mul_f32 v[vgprValuC+101], s[sgprAlpha], v[vgprValuC+31] // Multiply MI out reg with alpha
v_mul_f32 v[vgprValuC+103], s[sgprAlpha], v[vgprValuC+47] // Multiply MI out reg with alpha
v_mul_f32 v[vgprValuC+105], s[sgprAlpha], v[vgprValuC+63] // Multiply MI out reg with alpha

/* apply mask, calc new C and issue writes */
v_cvt_f16_f32 v[vgprValuC+71], v[vgprValuC+71]     // convert C to fp16
_buffer_store_b16 v71, v70, s[sgprSrdD:sgprSrdD+3], 0, offen, offset:0 // store D
v_cvt_f16_f32 v[vgprValuC+73], v[vgprValuC+73]     // convert C to fp16
_buffer_store_b16 v73, v72, s[sgprSrdD:sgprSrdD+3], 0, offen, offset:0 // store D
	;; [unrolled: 2-line block ×15, first 2 shown]
v_cvt_f16_f32 v[vgprValuC+101], v[vgprValuC+101]   // convert C to fp16
_buffer_store_b16 v101, v100, s[sgprSrdD:sgprSrdD+3], 0, offen, offset:0 // store D
v_cvt_f16_f32 v[vgprValuC+103], v[vgprValuC+103]   // convert C to fp16
_buffer_store_b16 v103, v102, s[sgprSrdD:sgprSrdD+3], 0, offen, offset:0 // store D
	;; [unrolled: 2-line block ×3, first 2 shown]
s_nop 0                                            // 1 wait state required when next inst writes vgprs held by previous dwordx4 store inst
s_branch label_GW_End_67                           // jump to end
GW_Beta_68:
s_and_b32 s32, 255, s[sgprSizeI]                   // s32 = s[sgprSizeI] % 256
s_add_u32 s33, -0x1, s[sgprNumWorkGroups0]         // 
s_cmp_ge_u32 s[sgprWorkGroup0], s33                // wg0 >= nwg0-1 ?
s_cselect_b32 s32, s32, 0                          // set rMT0
s_cmpk_gt_u32 s32, 0x0                             // rMT0 > 0
s_cbranch_scc1 GW_B1_E1_66                         // jump if edges required
s_and_b32 s32, 63, s[sgprSizeJ]                    // s32 = s[sgprSizeJ] % 64
s_add_u32 s33, -0x1, s[sgprNumWorkGroups1]         // 
s_cmp_ge_u32 s[sgprWorkGroup1], s33                // wg1 >= nwg1-1
s_cselect_b32 s32, s32, 0                          // set rMT1
s_cmpk_gt_u32 s32, 0x0                             // rMT1 > 0
s_cbranch_scc1 GW_B1_E1_66                         // jump if edges required
GW_B1_E0_63:

/* edge=0, allocate 2 sgpr. perBatchTmpS=2 perBatchMaskS=0 perElementMaskS=0 elementsPerBatch=28 */
/* optSingleColVgpr=1 optSharedColVgpr=0 optSGPRUsage=BufferLoad_Mask optSrdIncForRow=1 */

/******************************************/
/* Global Write Alpha Beta Batch #0 (d1,d0,vc1,vc0) = */
/*    (0,0,0,0:vw2); (0,0,1,0:vw2); (0,0,2,0:vw2); (0,0,3,0:vw2); (0,0,4,0:vw2); (0,0,5,0:vw2); (0,0,6,0:vw2); (0,0,7,0:vw2); (1,0,0,0:vw2); (1,0,1,0:vw2); (1,0,2,0:vw2); (1,0,3,0:vw2); (1,0,4,0:vw2); (1,0,5,0:vw2); (1,0,6,0:vw2); (1,0,7,0:vw2); (2,0,0,0:vw2); (2,0,1,0:vw2); (2,0,2,0:vw2); (2,0,3,0:vw2); (2,0,4,0:vw2); (2,0,5,0:vw2); (2,0,6,0:vw2); (2,0,7,0:vw2); (3,0,0,0:vw2); (3,0,1,0:vw2); (3,0,2,0:vw2); (3,0,3,0:vw2) */
/******************************************/

/* calc coords, apply mask, and issue loads (if necessary) */
/* (d1,vc1,d0,vc0)=(0,0,0,0) */
_v_add_lshl_u32 v71, v66, v64, 0x1                 // optSingleColVgpr scaleToBpe: sharedAddrVgpr <- cinRowPtr + coord0, scaled by BPE. BSHERE:coord0=64, coord0Vgpr=64
_buffer_load_b32 v72, v71, s[sgprSrdC:sgprSrdC+3], 0, offen offset:0 // load C for beta calc
/* (d1,vc1,d0,vc0)=(0,1,0,0) */
s_lshl_b32  s32, s[sgprStrideC1J], 1               // incToNextRow: Scale by BPE
s_add_u32  s[sgprSrdC+0], s[sgprSrdC+0], s32       // incToNextRow: gra SRD += inc(lower)
s_addc_u32  s[sgprSrdC+1], s[sgprSrdC+1], 0        // incToNextRow: gra SRD += inc(upper)
_buffer_load_b32 v73, v71, s[sgprSrdC:sgprSrdC+3], 0, offen offset:0 // load C for beta calc
/* (d1,vc1,d0,vc0)=(0,2,0,0) */
s_lshl_b32  s32, s[sgprStrideC1J], 1               // incToNextRow: Scale by BPE
s_add_u32  s[sgprSrdC+0], s[sgprSrdC+0], s32       // incToNextRow: gra SRD += inc(lower)
s_addc_u32  s[sgprSrdC+1], s[sgprSrdC+1], 0        // incToNextRow: gra SRD += inc(upper)
_buffer_load_b32 v78, v71, s[sgprSrdC:sgprSrdC+3], 0, offen offset:0 // load C for beta calc
/* (d1,vc1,d0,vc0)=(0,3,0,0) */
s_lshl_b32  s32, s[sgprStrideC1J], 1               // incToNextRow: Scale by BPE
s_add_u32  s[sgprSrdC+0], s[sgprSrdC+0], s32       // incToNextRow: gra SRD += inc(lower)
s_addc_u32  s[sgprSrdC+1], s[sgprSrdC+1], 0        // incToNextRow: gra SRD += inc(upper)
_buffer_load_b32 v79, v71, s[sgprSrdC:sgprSrdC+3], 0, offen offset:0 // load C for beta calc
/* (d1,vc1,d0,vc0)=(0,4,0,0) */
s_lshl_b32  s32, s[sgprStrideC1J], 1               // incToNextRow: Scale by BPE
s_add_u32  s[sgprSrdC+0], s[sgprSrdC+0], s32       // incToNextRow: gra SRD += inc(lower)
s_addc_u32  s[sgprSrdC+1], s[sgprSrdC+1], 0        // incToNextRow: gra SRD += inc(upper)
_buffer_load_b32 v84, v71, s[sgprSrdC:sgprSrdC+3], 0, offen offset:0 // load C for beta calc
/* (d1,vc1,d0,vc0)=(0,5,0,0) */
s_lshl_b32  s32, s[sgprStrideC1J], 1               // incToNextRow: Scale by BPE
s_add_u32  s[sgprSrdC+0], s[sgprSrdC+0], s32       // incToNextRow: gra SRD += inc(lower)
s_addc_u32  s[sgprSrdC+1], s[sgprSrdC+1], 0        // incToNextRow: gra SRD += inc(upper)
_buffer_load_b32 v85, v71, s[sgprSrdC:sgprSrdC+3], 0, offen offset:0 // load C for beta calc
/* (d1,vc1,d0,vc0)=(0,6,0,0) */
s_lshl_b32  s32, s[sgprStrideC1J], 1               // incToNextRow: Scale by BPE
s_add_u32  s[sgprSrdC+0], s[sgprSrdC+0], s32       // incToNextRow: gra SRD += inc(lower)
s_addc_u32  s[sgprSrdC+1], s[sgprSrdC+1], 0        // incToNextRow: gra SRD += inc(upper)
_buffer_load_b32 v90, v71, s[sgprSrdC:sgprSrdC+3], 0, offen offset:0 // load C for beta calc
/* (d1,vc1,d0,vc0)=(0,7,0,0) */
s_lshl_b32  s32, s[sgprStrideC1J], 1               // incToNextRow: Scale by BPE
s_add_u32  s[sgprSrdC+0], s[sgprSrdC+0], s32       // incToNextRow: gra SRD += inc(lower)
s_addc_u32  s[sgprSrdC+1], s[sgprSrdC+1], 0        // incToNextRow: gra SRD += inc(upper)
_buffer_load_b32 v91, v71, s[sgprSrdC:sgprSrdC+3], 0, offen offset:0 // load C for beta calc
/* (d1,vc1,d0,vc0)=(1,0,0,0) */
s_mul_i32 s32, s[sgprStrideC1J], 18                // scale StrideC *= numRows(9) * bpe
s_add_u32  s[sgprSrdC+0], s[sgprSrdC+0], s32       // incToNextRow: gra SRD += inc(lower)
s_addc_u32  s[sgprSrdC+1], s[sgprSrdC+1], 0        // incToNextRow: gra SRD += inc(upper)
_buffer_load_b32 v96, v71, s[sgprSrdC:sgprSrdC+3], 0, offen offset:0 // load C for beta calc
/* (d1,vc1,d0,vc0)=(1,1,0,0) */
s_lshl_b32  s32, s[sgprStrideC1J], 1               // incToNextRow: Scale by BPE
s_add_u32  s[sgprSrdC+0], s[sgprSrdC+0], s32       // incToNextRow: gra SRD += inc(lower)
s_addc_u32  s[sgprSrdC+1], s[sgprSrdC+1], 0        // incToNextRow: gra SRD += inc(upper)
_buffer_load_b32 v97, v71, s[sgprSrdC:sgprSrdC+3], 0, offen offset:0 // load C for beta calc
/* (d1,vc1,d0,vc0)=(1,2,0,0) */
s_lshl_b32  s32, s[sgprStrideC1J], 1               // incToNextRow: Scale by BPE
s_add_u32  s[sgprSrdC+0], s[sgprSrdC+0], s32       // incToNextRow: gra SRD += inc(lower)
s_addc_u32  s[sgprSrdC+1], s[sgprSrdC+1], 0        // incToNextRow: gra SRD += inc(upper)
_buffer_load_b32 v102, v71, s[sgprSrdC:sgprSrdC+3], 0, offen offset:0 // load C for beta calc
/* (d1,vc1,d0,vc0)=(1,3,0,0) */
s_lshl_b32  s32, s[sgprStrideC1J], 1               // incToNextRow: Scale by BPE
s_add_u32  s[sgprSrdC+0], s[sgprSrdC+0], s32       // incToNextRow: gra SRD += inc(lower)
s_addc_u32  s[sgprSrdC+1], s[sgprSrdC+1], 0        // incToNextRow: gra SRD += inc(upper)
_buffer_load_b32 v103, v71, s[sgprSrdC:sgprSrdC+3], 0, offen offset:0 // load C for beta calc
/* (d1,vc1,d0,vc0)=(1,4,0,0) */
s_lshl_b32  s32, s[sgprStrideC1J], 1               // incToNextRow: Scale by BPE
s_add_u32  s[sgprSrdC+0], s[sgprSrdC+0], s32       // incToNextRow: gra SRD += inc(lower)
s_addc_u32  s[sgprSrdC+1], s[sgprSrdC+1], 0        // incToNextRow: gra SRD += inc(upper)
_buffer_load_b32 v108, v71, s[sgprSrdC:sgprSrdC+3], 0, offen offset:0 // load C for beta calc
/* (d1,vc1,d0,vc0)=(1,5,0,0) */
s_lshl_b32  s32, s[sgprStrideC1J], 1               // incToNextRow: Scale by BPE
s_add_u32  s[sgprSrdC+0], s[sgprSrdC+0], s32       // incToNextRow: gra SRD += inc(lower)
s_addc_u32  s[sgprSrdC+1], s[sgprSrdC+1], 0        // incToNextRow: gra SRD += inc(upper)
_buffer_load_b32 v109, v71, s[sgprSrdC:sgprSrdC+3], 0, offen offset:0 // load C for beta calc
/* (d1,vc1,d0,vc0)=(1,6,0,0) */
s_lshl_b32  s32, s[sgprStrideC1J], 1               // incToNextRow: Scale by BPE
s_add_u32  s[sgprSrdC+0], s[sgprSrdC+0], s32       // incToNextRow: gra SRD += inc(lower)
s_addc_u32  s[sgprSrdC+1], s[sgprSrdC+1], 0        // incToNextRow: gra SRD += inc(upper)
_buffer_load_b32 v114, v71, s[sgprSrdC:sgprSrdC+3], 0, offen offset:0 // load C for beta calc
/* (d1,vc1,d0,vc0)=(1,7,0,0) */
s_lshl_b32  s32, s[sgprStrideC1J], 1               // incToNextRow: Scale by BPE
s_add_u32  s[sgprSrdC+0], s[sgprSrdC+0], s32       // incToNextRow: gra SRD += inc(lower)
s_addc_u32  s[sgprSrdC+1], s[sgprSrdC+1], 0        // incToNextRow: gra SRD += inc(upper)
_buffer_load_b32 v115, v71, s[sgprSrdC:sgprSrdC+3], 0, offen offset:0 // load C for beta calc
/* (d1,vc1,d0,vc0)=(2,0,0,0) */
s_mul_i32 s32, s[sgprStrideC1J], 18                // scale StrideC *= numRows(9) * bpe
s_add_u32  s[sgprSrdC+0], s[sgprSrdC+0], s32       // incToNextRow: gra SRD += inc(lower)
s_addc_u32  s[sgprSrdC+1], s[sgprSrdC+1], 0        // incToNextRow: gra SRD += inc(upper)
	;; [unrolled: 40-line block ×3, first 2 shown]
_buffer_load_b32 v147, v71, s[sgprSrdC:sgprSrdC+3], 0, offen offset:0 // load C for beta calc
/* (d1,vc1,d0,vc0)=(3,1,0,0) */
s_lshl_b32  s32, s[sgprStrideC1J], 1               // incToNextRow: Scale by BPE
s_add_u32  s[sgprSrdC+0], s[sgprSrdC+0], s32       // incToNextRow: gra SRD += inc(lower)
s_addc_u32  s[sgprSrdC+1], s[sgprSrdC+1], 0        // incToNextRow: gra SRD += inc(upper)
_buffer_load_b32 v152, v71, s[sgprSrdC:sgprSrdC+3], 0, offen offset:0 // load C for beta calc
/* (d1,vc1,d0,vc0)=(3,2,0,0) */
s_lshl_b32  s32, s[sgprStrideC1J], 1               // incToNextRow: Scale by BPE
s_add_u32  s[sgprSrdC+0], s[sgprSrdC+0], s32       // incToNextRow: gra SRD += inc(lower)
s_addc_u32  s[sgprSrdC+1], s[sgprSrdC+1], 0        // incToNextRow: gra SRD += inc(upper)
	;; [unrolled: 5-line block ×3, first 2 shown]
_buffer_load_b32 v158, v71, s[sgprSrdC:sgprSrdC+3], 0, offen offset:0 // load C for beta calc
_v_add_lshl_u32 v70, v67, v64, 0x1                 // optSingleColVgpr scaleToBpe: sharedAddrVgpr <- cinRowPtr + coord0, scaled by BPE. BSHERE:coord0=64, coord0Vgpr=64

/* rC *= alpha batchElements=[(0, 0, 0, 0), (0, 0, 1, 0), (0, 0, 2, 0), (0, 0, 3, 0), (0, 0, 4, 0), (0, 0, 5, 0), (0, 0, 6, 0), (0, 0, 7, 0), (1, 0, 0, 0), (1, 0, 1, 0), (1, 0, 2, 0), (1, 0, 3, 0), (1, 0, 4, 0), (1, 0, 5, 0), (1, 0, 6, 0), (1, 0, 7, 0), (2, 0, 0, 0), (2, 0, 1, 0), (2, 0, 2, 0), (2, 0, 3, 0), (2, 0, 4, 0), (2, 0, 5, 0), (2, 0, 6, 0), (2, 0, 7, 0), (3, 0, 0, 0), (3, 0, 1, 0), (3, 0, 2, 0), (3, 0, 3, 0)] */
v_mul_f32 v[vgprValuC+74], s[sgprAlpha], v[vgprValuC+0] // Multiply MI out reg with alpha
v_mul_f32 v[vgprValuC+75], s[sgprAlpha], v[vgprValuC+16] // Multiply MI out reg with alpha
	;; [unrolled: 1-line block ×56, first 2 shown]

/* apply mask, calc new C and issue writes */

s_waitcnt vmcnt(27)                                // wait C (interleaved) 27 = 28 - 0 + 0 - 1
v_fma_mix_f32 v[vgprValuC+74], s[sgprBeta], v72, v[vgprValuC+74], op_sel:[0,0,0] op_sel_hi:[0,1,0] // //C*=beta
v_fma_mix_f32 v[vgprValuC+75], s[sgprBeta], v72, v[vgprValuC+75], op_sel:[0,1,0] op_sel_hi:[0,1,0] // //C*=beta
v_cvt_f16_f32 v[vgprValuC+74], v[vgprValuC+74]     // convert C to fp16
v_cvt_f16_f32 v[vgprValuC+75], v[vgprValuC+75]     // convert C to fp16
v_pack_b32_f16 v74, v[vgprValuC+74], v[vgprValuC+75] // Pack with neighbor
_buffer_store_b32 v74, v70, s[sgprSrdD:sgprSrdD+3], 0, offen, offset:0 // store D

s_waitcnt vmcnt(27)                                // wait C (interleaved) 27 = 28 - 1 + 1 - 1
v_fma_mix_f32 v[vgprValuC+76], s[sgprBeta], v73, v[vgprValuC+76], op_sel:[0,0,0] op_sel_hi:[0,1,0] // //C*=beta
v_fma_mix_f32 v[vgprValuC+77], s[sgprBeta], v73, v[vgprValuC+77], op_sel:[0,1,0] op_sel_hi:[0,1,0] // //C*=beta
v_cvt_f16_f32 v[vgprValuC+76], v[vgprValuC+76]     // convert C to fp16
v_cvt_f16_f32 v[vgprValuC+77], v[vgprValuC+77]     // convert C to fp16
v_pack_b32_f16 v76, v[vgprValuC+76], v[vgprValuC+77] // Pack with neighbor
s_lshl_b32  s32, s[sgprStrideD1J], 1               // incToNextRow: Scale by BPE
s_add_u32  s[sgprSrdD+0], s[sgprSrdD+0], s32       // incToNextRow: gra SRD += inc(lower)
s_addc_u32  s[sgprSrdD+1], s[sgprSrdD+1], 0        // incToNextRow: gra SRD += inc(upper)
_buffer_store_b32 v76, v70, s[sgprSrdD:sgprSrdD+3], 0, offen, offset:0 // store D

s_waitcnt vmcnt(27)                                // wait C (interleaved) 27 = 28 - 2 + 2 - 1
v_fma_mix_f32 v[vgprValuC+80], s[sgprBeta], v78, v[vgprValuC+80], op_sel:[0,0,0] op_sel_hi:[0,1,0] // //C*=beta
v_fma_mix_f32 v[vgprValuC+81], s[sgprBeta], v78, v[vgprValuC+81], op_sel:[0,1,0] op_sel_hi:[0,1,0] // //C*=beta
v_cvt_f16_f32 v[vgprValuC+80], v[vgprValuC+80]     // convert C to fp16
v_cvt_f16_f32 v[vgprValuC+81], v[vgprValuC+81]     // convert C to fp16
v_pack_b32_f16 v80, v[vgprValuC+80], v[vgprValuC+81] // Pack with neighbor
s_lshl_b32  s32, s[sgprStrideD1J], 1               // incToNextRow: Scale by BPE
s_add_u32  s[sgprSrdD+0], s[sgprSrdD+0], s32       // incToNextRow: gra SRD += inc(lower)
s_addc_u32  s[sgprSrdD+1], s[sgprSrdD+1], 0        // incToNextRow: gra SRD += inc(upper)
	;; [unrolled: 11-line block ×7, first 2 shown]
_buffer_store_b32 v94, v70, s[sgprSrdD:sgprSrdD+3], 0, offen, offset:0 // store D

s_waitcnt vmcnt(27)                                // wait C (interleaved) 27 = 28 - 8 + 8 - 1
v_fma_mix_f32 v[vgprValuC+98], s[sgprBeta], v96, v[vgprValuC+98], op_sel:[0,0,0] op_sel_hi:[0,1,0] // //C*=beta
v_fma_mix_f32 v[vgprValuC+99], s[sgprBeta], v96, v[vgprValuC+99], op_sel:[0,1,0] op_sel_hi:[0,1,0] // //C*=beta
v_cvt_f16_f32 v[vgprValuC+98], v[vgprValuC+98]     // convert C to fp16
v_cvt_f16_f32 v[vgprValuC+99], v[vgprValuC+99]     // convert C to fp16
v_pack_b32_f16 v98, v[vgprValuC+98], v[vgprValuC+99] // Pack with neighbor
s_mul_i32 s32, s[sgprStrideD1J], 18                // scale StrideD *= numRows(9) * bpe
s_add_u32  s[sgprSrdD+0], s[sgprSrdD+0], s32       // incToNextRow: gra SRD += inc(lower)
s_addc_u32  s[sgprSrdD+1], s[sgprSrdD+1], 0        // incToNextRow: gra SRD += inc(upper)
_buffer_store_b32 v98, v70, s[sgprSrdD:sgprSrdD+3], 0, offen, offset:0 // store D

s_waitcnt vmcnt(27)                                // wait C (interleaved) 27 = 28 - 9 + 9 - 1
v_fma_mix_f32 v[vgprValuC+100], s[sgprBeta], v97, v[vgprValuC+100], op_sel:[0,0,0] op_sel_hi:[0,1,0] // //C*=beta
v_fma_mix_f32 v[vgprValuC+101], s[sgprBeta], v97, v[vgprValuC+101], op_sel:[0,1,0] op_sel_hi:[0,1,0] // //C*=beta
v_cvt_f16_f32 v[vgprValuC+100], v[vgprValuC+100]   // convert C to fp16
v_cvt_f16_f32 v[vgprValuC+101], v[vgprValuC+101]   // convert C to fp16
v_pack_b32_f16 v100, v[vgprValuC+100], v[vgprValuC+101] // Pack with neighbor
s_lshl_b32  s32, s[sgprStrideD1J], 1               // incToNextRow: Scale by BPE
s_add_u32  s[sgprSrdD+0], s[sgprSrdD+0], s32       // incToNextRow: gra SRD += inc(lower)
s_addc_u32  s[sgprSrdD+1], s[sgprSrdD+1], 0        // incToNextRow: gra SRD += inc(upper)
_buffer_store_b32 v100, v70, s[sgprSrdD:sgprSrdD+3], 0, offen, offset:0 // store D

s_waitcnt vmcnt(27)                                // wait C (interleaved) 27 = 28 - 10 + 10 - 1
v_fma_mix_f32 v[vgprValuC+104], s[sgprBeta], v102, v[vgprValuC+104], op_sel:[0,0,0] op_sel_hi:[0,1,0] // //C*=beta
v_fma_mix_f32 v[vgprValuC+105], s[sgprBeta], v102, v[vgprValuC+105], op_sel:[0,1,0] op_sel_hi:[0,1,0] // //C*=beta
v_cvt_f16_f32 v[vgprValuC+104], v[vgprValuC+104]   // convert C to fp16
v_cvt_f16_f32 v[vgprValuC+105], v[vgprValuC+105]   // convert C to fp16
v_pack_b32_f16 v104, v[vgprValuC+104], v[vgprValuC+105] // Pack with neighbor
s_lshl_b32  s32, s[sgprStrideD1J], 1               // incToNextRow: Scale by BPE
	;; [unrolled: 11-line block ×7, first 2 shown]
s_add_u32  s[sgprSrdD+0], s[sgprSrdD+0], s32       // incToNextRow: gra SRD += inc(lower)
s_addc_u32  s[sgprSrdD+1], s[sgprSrdD+1], 0        // incToNextRow: gra SRD += inc(upper)
_buffer_store_b32 v118, v70, s[sgprSrdD:sgprSrdD+3], 0, offen, offset:0 // store D

s_waitcnt vmcnt(27)                                // wait C (interleaved) 27 = 28 - 16 + 16 - 1
v_fma_mix_f32 v[vgprValuC+122], s[sgprBeta], v120, v[vgprValuC+122], op_sel:[0,0,0] op_sel_hi:[0,1,0] // //C*=beta
v_fma_mix_f32 v[vgprValuC+123], s[sgprBeta], v120, v[vgprValuC+123], op_sel:[0,1,0] op_sel_hi:[0,1,0] // //C*=beta
v_cvt_f16_f32 v[vgprValuC+122], v[vgprValuC+122]   // convert C to fp16
v_cvt_f16_f32 v[vgprValuC+123], v[vgprValuC+123]   // convert C to fp16
v_pack_b32_f16 v122, v[vgprValuC+122], v[vgprValuC+123] // Pack with neighbor
s_mul_i32 s32, s[sgprStrideD1J], 18                // scale StrideD *= numRows(9) * bpe
s_add_u32  s[sgprSrdD+0], s[sgprSrdD+0], s32       // incToNextRow: gra SRD += inc(lower)
s_addc_u32  s[sgprSrdD+1], s[sgprSrdD+1], 0        // incToNextRow: gra SRD += inc(upper)
_buffer_store_b32 v122, v70, s[sgprSrdD:sgprSrdD+3], 0, offen, offset:0 // store D

s_waitcnt vmcnt(27)                                // wait C (interleaved) 27 = 28 - 17 + 17 - 1
v_fma_mix_f32 v[vgprValuC+130], s[sgprBeta], v121, v[vgprValuC+130], op_sel:[0,0,0] op_sel_hi:[0,1,0] // //C*=beta
v_fma_mix_f32 v[vgprValuC+131], s[sgprBeta], v121, v[vgprValuC+131], op_sel:[0,1,0] op_sel_hi:[0,1,0] // //C*=beta
v_cvt_f16_f32 v[vgprValuC+130], v[vgprValuC+130]   // convert C to fp16
v_cvt_f16_f32 v[vgprValuC+131], v[vgprValuC+131]   // convert C to fp16
v_pack_b32_f16 v130, v[vgprValuC+130], v[vgprValuC+131] // Pack with neighbor
s_lshl_b32  s32, s[sgprStrideD1J], 1               // incToNextRow: Scale by BPE
s_add_u32  s[sgprSrdD+0], s[sgprSrdD+0], s32       // incToNextRow: gra SRD += inc(lower)
s_addc_u32  s[sgprSrdD+1], s[sgprSrdD+1], 0        // incToNextRow: gra SRD += inc(upper)
_buffer_store_b32 v130, v70, s[sgprSrdD:sgprSrdD+3], 0, offen, offset:0 // store D

s_waitcnt vmcnt(27)                                // wait C (interleaved) 27 = 28 - 18 + 18 - 1
v_fma_mix_f32 v[vgprValuC+132], s[sgprBeta], v129, v[vgprValuC+132], op_sel:[0,0,0] op_sel_hi:[0,1,0] // //C*=beta
v_fma_mix_f32 v[vgprValuC+133], s[sgprBeta], v129, v[vgprValuC+133], op_sel:[0,1,0] op_sel_hi:[0,1,0] // //C*=beta
v_cvt_f16_f32 v[vgprValuC+132], v[vgprValuC+132]   // convert C to fp16
v_cvt_f16_f32 v[vgprValuC+133], v[vgprValuC+133]   // convert C to fp16
v_pack_b32_f16 v132, v[vgprValuC+132], v[vgprValuC+133] // Pack with neighbor
s_lshl_b32  s32, s[sgprStrideD1J], 1               // incToNextRow: Scale by BPE
	;; [unrolled: 11-line block ×7, first 2 shown]
s_add_u32  s[sgprSrdD+0], s[sgprSrdD+0], s32       // incToNextRow: gra SRD += inc(lower)
s_addc_u32  s[sgprSrdD+1], s[sgprSrdD+1], 0        // incToNextRow: gra SRD += inc(upper)
_buffer_store_b32 v148, v70, s[sgprSrdD:sgprSrdD+3], 0, offen, offset:0 // store D

s_waitcnt vmcnt(27)                                // wait C (interleaved) 27 = 28 - 24 + 24 - 1
v_fma_mix_f32 v[vgprValuC+150], s[sgprBeta], v147, v[vgprValuC+150], op_sel:[0,0,0] op_sel_hi:[0,1,0] // //C*=beta
v_fma_mix_f32 v[vgprValuC+151], s[sgprBeta], v147, v[vgprValuC+151], op_sel:[0,1,0] op_sel_hi:[0,1,0] // //C*=beta
v_cvt_f16_f32 v[vgprValuC+150], v[vgprValuC+150]   // convert C to fp16
v_cvt_f16_f32 v[vgprValuC+151], v[vgprValuC+151]   // convert C to fp16
v_pack_b32_f16 v150, v[vgprValuC+150], v[vgprValuC+151] // Pack with neighbor
s_mul_i32 s32, s[sgprStrideD1J], 18                // scale StrideD *= numRows(9) * bpe
s_add_u32  s[sgprSrdD+0], s[sgprSrdD+0], s32       // incToNextRow: gra SRD += inc(lower)
s_addc_u32  s[sgprSrdD+1], s[sgprSrdD+1], 0        // incToNextRow: gra SRD += inc(upper)
_buffer_store_b32 v150, v70, s[sgprSrdD:sgprSrdD+3], 0, offen, offset:0 // store D

s_waitcnt vmcnt(27)                                // wait C (interleaved) 27 = 28 - 25 + 25 - 1
v_fma_mix_f32 v[vgprValuC+154], s[sgprBeta], v152, v[vgprValuC+154], op_sel:[0,0,0] op_sel_hi:[0,1,0] // //C*=beta
v_fma_mix_f32 v[vgprValuC+155], s[sgprBeta], v152, v[vgprValuC+155], op_sel:[0,1,0] op_sel_hi:[0,1,0] // //C*=beta
v_cvt_f16_f32 v[vgprValuC+154], v[vgprValuC+154]   // convert C to fp16
v_cvt_f16_f32 v[vgprValuC+155], v[vgprValuC+155]   // convert C to fp16
v_pack_b32_f16 v154, v[vgprValuC+154], v[vgprValuC+155] // Pack with neighbor
s_lshl_b32  s32, s[sgprStrideD1J], 1               // incToNextRow: Scale by BPE
s_add_u32  s[sgprSrdD+0], s[sgprSrdD+0], s32       // incToNextRow: gra SRD += inc(lower)
s_addc_u32  s[sgprSrdD+1], s[sgprSrdD+1], 0        // incToNextRow: gra SRD += inc(upper)
_buffer_store_b32 v154, v70, s[sgprSrdD:sgprSrdD+3], 0, offen, offset:0 // store D

s_waitcnt vmcnt(27)                                // wait C (interleaved) 27 = 28 - 26 + 26 - 1
v_fma_mix_f32 v[vgprValuC+156], s[sgprBeta], v153, v[vgprValuC+156], op_sel:[0,0,0] op_sel_hi:[0,1,0] // //C*=beta
v_fma_mix_f32 v[vgprValuC+157], s[sgprBeta], v153, v[vgprValuC+157], op_sel:[0,1,0] op_sel_hi:[0,1,0] // //C*=beta
v_cvt_f16_f32 v[vgprValuC+156], v[vgprValuC+156]   // convert C to fp16
v_cvt_f16_f32 v[vgprValuC+157], v[vgprValuC+157]   // convert C to fp16
v_pack_b32_f16 v156, v[vgprValuC+156], v[vgprValuC+157] // Pack with neighbor
s_lshl_b32  s32, s[sgprStrideD1J], 1               // incToNextRow: Scale by BPE
	;; [unrolled: 11-line block ×3, first 2 shown]
s_add_u32  s[sgprSrdD+0], s[sgprSrdD+0], s32       // incToNextRow: gra SRD += inc(lower)
s_addc_u32  s[sgprSrdD+1], s[sgprSrdD+1], 0        // incToNextRow: gra SRD += inc(upper)
_buffer_store_b32 v160, v70, s[sgprSrdD:sgprSrdD+3], 0, offen, offset:0 // store D
s_nop 0                                            // 1 wait state required when next inst writes vgprs held by previous dwordx4 store inst
/* optSingleColVgpr=1 optSharedColVgpr=0 optSGPRUsage=BufferLoad_Mask optSrdIncForRow=1 */

/******************************************/
/* Global Write Alpha Beta Batch #1 (d1,d0,vc1,vc0) = */
/*    (3,0,4,0:vw2); (3,0,5,0:vw2); (3,0,6,0:vw2); (3,0,7,0:vw2) */
/******************************************/

/* calc coords, apply mask, and issue loads (if necessary) */
/* (d1,vc1,d0,vc0)=(3,4,0,0) */
s_lshl_b32  s32, s[sgprStrideC1J], 1               // incToNextRow: Scale by BPE
s_add_u32  s[sgprSrdC+0], s[sgprSrdC+0], s32       // incToNextRow: gra SRD += inc(lower)
s_addc_u32  s[sgprSrdC+1], s[sgprSrdC+1], 0        // incToNextRow: gra SRD += inc(upper)
_buffer_load_b32 v72, v71, s[sgprSrdC:sgprSrdC+3], 0, offen offset:0 // load C for beta calc
/* (d1,vc1,d0,vc0)=(3,5,0,0) */
s_lshl_b32  s32, s[sgprStrideC1J], 1               // incToNextRow: Scale by BPE
s_add_u32  s[sgprSrdC+0], s[sgprSrdC+0], s32       // incToNextRow: gra SRD += inc(lower)
s_addc_u32  s[sgprSrdC+1], s[sgprSrdC+1], 0        // incToNextRow: gra SRD += inc(upper)
_buffer_load_b32 v73, v71, s[sgprSrdC:sgprSrdC+3], 0, offen offset:0 // load C for beta calc
	;; [unrolled: 5-line block ×4, first 2 shown]

/* rC *= alpha batchElements=[(3, 0, 4, 0), (3, 0, 5, 0), (3, 0, 6, 0), (3, 0, 7, 0)] */
v_mul_f32 v[vgprValuC+74], s[sgprAlpha], v[vgprValuC+14] // Multiply MI out reg with alpha
v_mul_f32 v[vgprValuC+75], s[sgprAlpha], v[vgprValuC+30] // Multiply MI out reg with alpha
v_mul_f32 v[vgprValuC+76], s[sgprAlpha], v[vgprValuC+46] // Multiply MI out reg with alpha
v_mul_f32 v[vgprValuC+77], s[sgprAlpha], v[vgprValuC+62] // Multiply MI out reg with alpha
v_mul_f32 v[vgprValuC+80], s[sgprAlpha], v[vgprValuC+15] // Multiply MI out reg with alpha
v_mul_f32 v[vgprValuC+81], s[sgprAlpha], v[vgprValuC+31] // Multiply MI out reg with alpha
v_mul_f32 v[vgprValuC+82], s[sgprAlpha], v[vgprValuC+47] // Multiply MI out reg with alpha
v_mul_f32 v[vgprValuC+83], s[sgprAlpha], v[vgprValuC+63] // Multiply MI out reg with alpha

/* apply mask, calc new C and issue writes */

s_waitcnt vmcnt(3)                                 // wait C (interleaved) 3 = 4 - 0 + 0 - 1
v_fma_mix_f32 v[vgprValuC+74], s[sgprBeta], v72, v[vgprValuC+74], op_sel:[0,0,0] op_sel_hi:[0,1,0] // //C*=beta
v_fma_mix_f32 v[vgprValuC+75], s[sgprBeta], v72, v[vgprValuC+75], op_sel:[0,1,0] op_sel_hi:[0,1,0] // //C*=beta
v_cvt_f16_f32 v[vgprValuC+74], v[vgprValuC+74]     // convert C to fp16
v_cvt_f16_f32 v[vgprValuC+75], v[vgprValuC+75]     // convert C to fp16
v_pack_b32_f16 v74, v[vgprValuC+74], v[vgprValuC+75] // Pack with neighbor
s_lshl_b32  s32, s[sgprStrideD1J], 1               // incToNextRow: Scale by BPE
s_add_u32  s[sgprSrdD+0], s[sgprSrdD+0], s32       // incToNextRow: gra SRD += inc(lower)
s_addc_u32  s[sgprSrdD+1], s[sgprSrdD+1], 0        // incToNextRow: gra SRD += inc(upper)
_buffer_store_b32 v74, v70, s[sgprSrdD:sgprSrdD+3], 0, offen, offset:0 // store D

s_waitcnt vmcnt(3)                                 // wait C (interleaved) 3 = 4 - 1 + 1 - 1
v_fma_mix_f32 v[vgprValuC+76], s[sgprBeta], v73, v[vgprValuC+76], op_sel:[0,0,0] op_sel_hi:[0,1,0] // //C*=beta
v_fma_mix_f32 v[vgprValuC+77], s[sgprBeta], v73, v[vgprValuC+77], op_sel:[0,1,0] op_sel_hi:[0,1,0] // //C*=beta
v_cvt_f16_f32 v[vgprValuC+76], v[vgprValuC+76]     // convert C to fp16
v_cvt_f16_f32 v[vgprValuC+77], v[vgprValuC+77]     // convert C to fp16
v_pack_b32_f16 v76, v[vgprValuC+76], v[vgprValuC+77] // Pack with neighbor
s_lshl_b32  s32, s[sgprStrideD1J], 1               // incToNextRow: Scale by BPE
s_add_u32  s[sgprSrdD+0], s[sgprSrdD+0], s32       // incToNextRow: gra SRD += inc(lower)
s_addc_u32  s[sgprSrdD+1], s[sgprSrdD+1], 0        // incToNextRow: gra SRD += inc(upper)
_buffer_store_b32 v76, v70, s[sgprSrdD:sgprSrdD+3], 0, offen, offset:0 // store D
	;; [unrolled: 11-line block ×4, first 2 shown]
s_nop 0                                            // 1 wait state required when next inst writes vgprs held by previous dwordx4 store inst
s_branch label_GW_End_67                           // jump to end
GW_B1_E1_66:

/* edge=1, allocate 6 sgpr. perBatchTmpS=4 perBatchMaskS=2 perElementMaskS=0 elementsPerBatch=30 */
/* optSingleColVgpr=0 optSharedColVgpr=0 optSGPRUsage=BufferLoad_Edge_Mask optSrdIncForRow=0 */

/******************************************/
/* Global Write Alpha Beta Edge Batch #0 (d1,d0,vc1,vc0) = */
/*    (0,0,0,0:vw1); (0,0,0,1:vw1); (0,0,1,0:vw1); (0,0,1,1:vw1); (0,0,2,0:vw1); (0,0,2,1:vw1); (0,0,3,0:vw1); (0,0,3,1:vw1); (0,0,4,0:vw1); (0,0,4,1:vw1); (0,0,5,0:vw1); (0,0,5,1:vw1); (0,0,6,0:vw1); (0,0,6,1:vw1); (0,0,7,0:vw1); (0,0,7,1:vw1); (1,0,0,0:vw1); (1,0,0,1:vw1); (1,0,1,0:vw1); (1,0,1,1:vw1); (1,0,2,0:vw1); (1,0,2,1:vw1); (1,0,3,0:vw1); (1,0,3,1:vw1); (1,0,4,0:vw1); (1,0,4,1:vw1); (1,0,5,0:vw1); (1,0,5,1:vw1); (1,0,6,0:vw1); (1,0,6,1:vw1) */
/******************************************/

/* calc coords, apply mask, and issue loads (if necessary) */
/* (d1,vc1,d0,vc0)=(0,0,0,0) */
v_cmp_lt_u32 s[52:53], v64, s[sgprSizeI]           // coord0 < size0
v_cmp_lt_u32 s[56:57], v65, s[sgprSizeJ]           // coord1 < size1
s_and_b64 s[56:57], s[52:53], s[56:57]             // in0 && in1
_v_add_lshl_u32 v70, v66, v64, 0x1                 // scaleToBpe: accumulate d0 lower and *= bpe into Cin addr
v_cndmask_b32 v70, -1, v70, s[56:57]               // LDC clip if OOB. offset
_buffer_load_d16_b16 v71, v70, s[sgprSrdC:sgprSrdC+3], 0, offen offset:0 // load C for beta calc
_v_add_lshl_u32 v70, v67, v64, 0x1                 // scaleToBpe: accumulate d0 lower and *= bpe into Cin addr
v_cndmask_b32 v70, -1, v70, s[56:57]               // LDD clip if OOB. offset
/* (d1,vc1,d0,vc0)=(0,0,0,1) */
_v_add_co_u32 v68, vcc, v64, 1                     // coord0.1: coord0 += d0*sg0*VW + vc0
v_cmp_lt_u32 s[52:53], v68, s[sgprSizeI]           // coord0 < size0
v_cmp_lt_u32 s[56:57], v65, s[sgprSizeJ]           // coord1 < size1
s_and_b64 s[56:57], s[52:53], s[56:57]             // in0 && in1
_v_add_lshl_u32 v73, v66, v68, 0x1                 // scaleToBpe: accumulate d0 lower and *= bpe into Cin addr
v_cndmask_b32 v73, -1, v73, s[56:57]               // LDC clip if OOB. offset
_buffer_load_d16_hi_b16 v74, v73, s[sgprSrdC:sgprSrdC+3], 0, offen offset:0 // load C for beta calc
_v_add_lshl_u32 v73, v67, v68, 0x1                 // scaleToBpe: accumulate d0 lower and *= bpe into Cin addr
v_cndmask_b32 v73, -1, v73, s[56:57]               // LDD clip if OOB. offset
/* (d1,vc1,d0,vc0)=(0,1,0,0) */
_v_add_co_u32 v65, vcc, v65, 1                     // coord1.1: coord1Vgpr += d1*sg1*VW + vc1

/* Fix for UseInitialStridesCD, emitAddressSetupCode */
_v_add_u32 v66, v66, s[sgprStrideC1J]              // ROWINC- Move cinRowPtr to next row
_v_add_u32 v67, v67, s[sgprStrideD1J]              // Move coutRowPtr to next row
v_cmp_lt_u32 s[52:53], v64, s[sgprSizeI]           // coord0 < size0
v_cmp_lt_u32 s[56:57], v65, s[sgprSizeJ]           // coord1 < size1
s_and_b64 s[56:57], s[52:53], s[56:57]             // in0 && in1
_v_add_lshl_u32 v76, v66, v64, 0x1                 // scaleToBpe: accumulate d0 lower and *= bpe into Cin addr
v_cndmask_b32 v76, -1, v76, s[56:57]               // LDC clip if OOB. offset
_buffer_load_d16_b16 v77, v76, s[sgprSrdC:sgprSrdC+3], 0, offen offset:0 // load C for beta calc
_v_add_lshl_u32 v76, v67, v64, 0x1                 // scaleToBpe: accumulate d0 lower and *= bpe into Cin addr
v_cndmask_b32 v76, -1, v76, s[56:57]               // LDD clip if OOB. offset
/* (d1,vc1,d0,vc0)=(0,1,0,1) */
_v_add_co_u32 v68, vcc, v64, 1                     // coord0.1: coord0 += d0*sg0*VW + vc0
v_cmp_lt_u32 s[52:53], v68, s[sgprSizeI]           // coord0 < size0
v_cmp_lt_u32 s[56:57], v65, s[sgprSizeJ]           // coord1 < size1
s_and_b64 s[56:57], s[52:53], s[56:57]             // in0 && in1
_v_add_lshl_u32 v79, v66, v68, 0x1                 // scaleToBpe: accumulate d0 lower and *= bpe into Cin addr
v_cndmask_b32 v79, -1, v79, s[56:57]               // LDC clip if OOB. offset
_buffer_load_d16_hi_b16 v80, v79, s[sgprSrdC:sgprSrdC+3], 0, offen offset:0 // load C for beta calc
_v_add_lshl_u32 v79, v67, v68, 0x1                 // scaleToBpe: accumulate d0 lower and *= bpe into Cin addr
v_cndmask_b32 v79, -1, v79, s[56:57]               // LDD clip if OOB. offset
/* (d1,vc1,d0,vc0)=(0,2,0,0) */
_v_add_co_u32 v65, vcc, v65, 1                     // coord1.1: coord1Vgpr += d1*sg1*VW + vc1

/* Fix for UseInitialStridesCD, emitAddressSetupCode */
_v_add_u32 v66, v66, s[sgprStrideC1J]              // ROWINC- Move cinRowPtr to next row
_v_add_u32 v67, v67, s[sgprStrideD1J]              // Move coutRowPtr to next row
v_cmp_lt_u32 s[52:53], v64, s[sgprSizeI]           // coord0 < size0
v_cmp_lt_u32 s[56:57], v65, s[sgprSizeJ]           // coord1 < size1
s_and_b64 s[56:57], s[52:53], s[56:57]             // in0 && in1
_v_add_lshl_u32 v82, v66, v64, 0x1                 // scaleToBpe: accumulate d0 lower and *= bpe into Cin addr
v_cndmask_b32 v82, -1, v82, s[56:57]               // LDC clip if OOB. offset
_buffer_load_d16_b16 v83, v82, s[sgprSrdC:sgprSrdC+3], 0, offen offset:0 // load C for beta calc
_v_add_lshl_u32 v82, v67, v64, 0x1                 // scaleToBpe: accumulate d0 lower and *= bpe into Cin addr
v_cndmask_b32 v82, -1, v82, s[56:57]               // LDD clip if OOB. offset
/* (d1,vc1,d0,vc0)=(0,2,0,1) */
_v_add_co_u32 v68, vcc, v64, 1                     // coord0.1: coord0 += d0*sg0*VW + vc0
v_cmp_lt_u32 s[52:53], v68, s[sgprSizeI]           // coord0 < size0
v_cmp_lt_u32 s[56:57], v65, s[sgprSizeJ]           // coord1 < size1
s_and_b64 s[56:57], s[52:53], s[56:57]             // in0 && in1
_v_add_lshl_u32 v85, v66, v68, 0x1                 // scaleToBpe: accumulate d0 lower and *= bpe into Cin addr
v_cndmask_b32 v85, -1, v85, s[56:57]               // LDC clip if OOB. offset
_buffer_load_d16_hi_b16 v86, v85, s[sgprSrdC:sgprSrdC+3], 0, offen offset:0 // load C for beta calc
_v_add_lshl_u32 v85, v67, v68, 0x1                 // scaleToBpe: accumulate d0 lower and *= bpe into Cin addr
v_cndmask_b32 v85, -1, v85, s[56:57]               // LDD clip if OOB. offset
/* (d1,vc1,d0,vc0)=(0,3,0,0) */
_v_add_co_u32 v65, vcc, v65, 1                     // coord1.1: coord1Vgpr += d1*sg1*VW + vc1

/* Fix for UseInitialStridesCD, emitAddressSetupCode */
_v_add_u32 v66, v66, s[sgprStrideC1J]              // ROWINC- Move cinRowPtr to next row
_v_add_u32 v67, v67, s[sgprStrideD1J]              // Move coutRowPtr to next row
v_cmp_lt_u32 s[52:53], v64, s[sgprSizeI]           // coord0 < size0
v_cmp_lt_u32 s[56:57], v65, s[sgprSizeJ]           // coord1 < size1
s_and_b64 s[56:57], s[52:53], s[56:57]             // in0 && in1
_v_add_lshl_u32 v88, v66, v64, 0x1                 // scaleToBpe: accumulate d0 lower and *= bpe into Cin addr
v_cndmask_b32 v88, -1, v88, s[56:57]               // LDC clip if OOB. offset
_buffer_load_d16_b16 v89, v88, s[sgprSrdC:sgprSrdC+3], 0, offen offset:0 // load C for beta calc
_v_add_lshl_u32 v88, v67, v64, 0x1                 // scaleToBpe: accumulate d0 lower and *= bpe into Cin addr
v_cndmask_b32 v88, -1, v88, s[56:57]               // LDD clip if OOB. offset
/* (d1,vc1,d0,vc0)=(0,3,0,1) */
_v_add_co_u32 v68, vcc, v64, 1                     // coord0.1: coord0 += d0*sg0*VW + vc0
v_cmp_lt_u32 s[52:53], v68, s[sgprSizeI]           // coord0 < size0
v_cmp_lt_u32 s[56:57], v65, s[sgprSizeJ]           // coord1 < size1
s_and_b64 s[56:57], s[52:53], s[56:57]             // in0 && in1
_v_add_lshl_u32 v91, v66, v68, 0x1                 // scaleToBpe: accumulate d0 lower and *= bpe into Cin addr
v_cndmask_b32 v91, -1, v91, s[56:57]               // LDC clip if OOB. offset
_buffer_load_d16_hi_b16 v92, v91, s[sgprSrdC:sgprSrdC+3], 0, offen offset:0 // load C for beta calc
_v_add_lshl_u32 v91, v67, v68, 0x1                 // scaleToBpe: accumulate d0 lower and *= bpe into Cin addr
v_cndmask_b32 v91, -1, v91, s[56:57]               // LDD clip if OOB. offset
/* (d1,vc1,d0,vc0)=(0,4,0,0) */
_v_add_co_u32 v65, vcc, v65, 1                     // coord1.1: coord1Vgpr += d1*sg1*VW + vc1

/* Fix for UseInitialStridesCD, emitAddressSetupCode */
_v_add_u32 v66, v66, s[sgprStrideC1J]              // ROWINC- Move cinRowPtr to next row
_v_add_u32 v67, v67, s[sgprStrideD1J]              // Move coutRowPtr to next row
v_cmp_lt_u32 s[52:53], v64, s[sgprSizeI]           // coord0 < size0
v_cmp_lt_u32 s[56:57], v65, s[sgprSizeJ]           // coord1 < size1
s_and_b64 s[56:57], s[52:53], s[56:57]             // in0 && in1
_v_add_lshl_u32 v94, v66, v64, 0x1                 // scaleToBpe: accumulate d0 lower and *= bpe into Cin addr
v_cndmask_b32 v94, -1, v94, s[56:57]               // LDC clip if OOB. offset
_buffer_load_d16_b16 v95, v94, s[sgprSrdC:sgprSrdC+3], 0, offen offset:0 // load C for beta calc
_v_add_lshl_u32 v94, v67, v64, 0x1                 // scaleToBpe: accumulate d0 lower and *= bpe into Cin addr
v_cndmask_b32 v94, -1, v94, s[56:57]               // LDD clip if OOB. offset
/* (d1,vc1,d0,vc0)=(0,4,0,1) */
_v_add_co_u32 v68, vcc, v64, 1                     // coord0.1: coord0 += d0*sg0*VW + vc0
v_cmp_lt_u32 s[52:53], v68, s[sgprSizeI]           // coord0 < size0
v_cmp_lt_u32 s[56:57], v65, s[sgprSizeJ]           // coord1 < size1
s_and_b64 s[56:57], s[52:53], s[56:57]             // in0 && in1
_v_add_lshl_u32 v97, v66, v68, 0x1                 // scaleToBpe: accumulate d0 lower and *= bpe into Cin addr
v_cndmask_b32 v97, -1, v97, s[56:57]               // LDC clip if OOB. offset
_buffer_load_d16_hi_b16 v98, v97, s[sgprSrdC:sgprSrdC+3], 0, offen offset:0 // load C for beta calc
_v_add_lshl_u32 v97, v67, v68, 0x1                 // scaleToBpe: accumulate d0 lower and *= bpe into Cin addr
v_cndmask_b32 v97, -1, v97, s[56:57]               // LDD clip if OOB. offset
/* (d1,vc1,d0,vc0)=(0,5,0,0) */
_v_add_co_u32 v65, vcc, v65, 1                     // coord1.1: coord1Vgpr += d1*sg1*VW + vc1

/* Fix for UseInitialStridesCD, emitAddressSetupCode */
_v_add_u32 v66, v66, s[sgprStrideC1J]              // ROWINC- Move cinRowPtr to next row
_v_add_u32 v67, v67, s[sgprStrideD1J]              // Move coutRowPtr to next row
v_cmp_lt_u32 s[52:53], v64, s[sgprSizeI]           // coord0 < size0
v_cmp_lt_u32 s[56:57], v65, s[sgprSizeJ]           // coord1 < size1
s_and_b64 s[56:57], s[52:53], s[56:57]             // in0 && in1
_v_add_lshl_u32 v100, v66, v64, 0x1                // scaleToBpe: accumulate d0 lower and *= bpe into Cin addr
v_cndmask_b32 v100, -1, v100, s[56:57]             // LDC clip if OOB. offset
_buffer_load_d16_b16 v101, v100, s[sgprSrdC:sgprSrdC+3], 0, offen offset:0 // load C for beta calc
_v_add_lshl_u32 v100, v67, v64, 0x1                // scaleToBpe: accumulate d0 lower and *= bpe into Cin addr
v_cndmask_b32 v100, -1, v100, s[56:57]             // LDD clip if OOB. offset
/* (d1,vc1,d0,vc0)=(0,5,0,1) */
_v_add_co_u32 v68, vcc, v64, 1                     // coord0.1: coord0 += d0*sg0*VW + vc0
v_cmp_lt_u32 s[52:53], v68, s[sgprSizeI]           // coord0 < size0
v_cmp_lt_u32 s[56:57], v65, s[sgprSizeJ]           // coord1 < size1
s_and_b64 s[56:57], s[52:53], s[56:57]             // in0 && in1
_v_add_lshl_u32 v103, v66, v68, 0x1                // scaleToBpe: accumulate d0 lower and *= bpe into Cin addr
v_cndmask_b32 v103, -1, v103, s[56:57]             // LDC clip if OOB. offset
_buffer_load_d16_hi_b16 v104, v103, s[sgprSrdC:sgprSrdC+3], 0, offen offset:0 // load C for beta calc
_v_add_lshl_u32 v103, v67, v68, 0x1                // scaleToBpe: accumulate d0 lower and *= bpe into Cin addr
v_cndmask_b32 v103, -1, v103, s[56:57]             // LDD clip if OOB. offset
/* (d1,vc1,d0,vc0)=(0,6,0,0) */
_v_add_co_u32 v65, vcc, v65, 1                     // coord1.1: coord1Vgpr += d1*sg1*VW + vc1

/* Fix for UseInitialStridesCD, emitAddressSetupCode */
_v_add_u32 v66, v66, s[sgprStrideC1J]              // ROWINC- Move cinRowPtr to next row
_v_add_u32 v67, v67, s[sgprStrideD1J]              // Move coutRowPtr to next row
v_cmp_lt_u32 s[52:53], v64, s[sgprSizeI]           // coord0 < size0
v_cmp_lt_u32 s[56:57], v65, s[sgprSizeJ]           // coord1 < size1
s_and_b64 s[56:57], s[52:53], s[56:57]             // in0 && in1
_v_add_lshl_u32 v106, v66, v64, 0x1                // scaleToBpe: accumulate d0 lower and *= bpe into Cin addr
v_cndmask_b32 v106, -1, v106, s[56:57]             // LDC clip if OOB. offset
_buffer_load_d16_b16 v107, v106, s[sgprSrdC:sgprSrdC+3], 0, offen offset:0 // load C for beta calc
_v_add_lshl_u32 v106, v67, v64, 0x1                // scaleToBpe: accumulate d0 lower and *= bpe into Cin addr
v_cndmask_b32 v106, -1, v106, s[56:57]             // LDD clip if OOB. offset
/* (d1,vc1,d0,vc0)=(0,6,0,1) */
_v_add_co_u32 v68, vcc, v64, 1                     // coord0.1: coord0 += d0*sg0*VW + vc0
v_cmp_lt_u32 s[52:53], v68, s[sgprSizeI]           // coord0 < size0
v_cmp_lt_u32 s[56:57], v65, s[sgprSizeJ]           // coord1 < size1
s_and_b64 s[56:57], s[52:53], s[56:57]             // in0 && in1
_v_add_lshl_u32 v109, v66, v68, 0x1                // scaleToBpe: accumulate d0 lower and *= bpe into Cin addr
v_cndmask_b32 v109, -1, v109, s[56:57]             // LDC clip if OOB. offset
_buffer_load_d16_hi_b16 v110, v109, s[sgprSrdC:sgprSrdC+3], 0, offen offset:0 // load C for beta calc
_v_add_lshl_u32 v109, v67, v68, 0x1                // scaleToBpe: accumulate d0 lower and *= bpe into Cin addr
v_cndmask_b32 v109, -1, v109, s[56:57]             // LDD clip if OOB. offset
/* (d1,vc1,d0,vc0)=(0,7,0,0) */
_v_add_co_u32 v65, vcc, v65, 1                     // coord1.1: coord1Vgpr += d1*sg1*VW + vc1

/* Fix for UseInitialStridesCD, emitAddressSetupCode */
_v_add_u32 v66, v66, s[sgprStrideC1J]              // ROWINC- Move cinRowPtr to next row
_v_add_u32 v67, v67, s[sgprStrideD1J]              // Move coutRowPtr to next row
v_cmp_lt_u32 s[52:53], v64, s[sgprSizeI]           // coord0 < size0
v_cmp_lt_u32 s[56:57], v65, s[sgprSizeJ]           // coord1 < size1
s_and_b64 s[56:57], s[52:53], s[56:57]             // in0 && in1
_v_add_lshl_u32 v112, v66, v64, 0x1                // scaleToBpe: accumulate d0 lower and *= bpe into Cin addr
v_cndmask_b32 v112, -1, v112, s[56:57]             // LDC clip if OOB. offset
_buffer_load_d16_b16 v113, v112, s[sgprSrdC:sgprSrdC+3], 0, offen offset:0 // load C for beta calc
_v_add_lshl_u32 v112, v67, v64, 0x1                // scaleToBpe: accumulate d0 lower and *= bpe into Cin addr
v_cndmask_b32 v112, -1, v112, s[56:57]             // LDD clip if OOB. offset
/* (d1,vc1,d0,vc0)=(0,7,0,1) */
_v_add_co_u32 v68, vcc, v64, 1                     // coord0.1: coord0 += d0*sg0*VW + vc0
v_cmp_lt_u32 s[52:53], v68, s[sgprSizeI]           // coord0 < size0
v_cmp_lt_u32 s[56:57], v65, s[sgprSizeJ]           // coord1 < size1
s_and_b64 s[56:57], s[52:53], s[56:57]             // in0 && in1
_v_add_lshl_u32 v115, v66, v68, 0x1                // scaleToBpe: accumulate d0 lower and *= bpe into Cin addr
v_cndmask_b32 v115, -1, v115, s[56:57]             // LDC clip if OOB. offset
_buffer_load_d16_hi_b16 v116, v115, s[sgprSrdC:sgprSrdC+3], 0, offen offset:0 // load C for beta calc
_v_add_lshl_u32 v115, v67, v68, 0x1                // scaleToBpe: accumulate d0 lower and *= bpe into Cin addr
v_cndmask_b32 v115, -1, v115, s[56:57]             // LDD clip if OOB. offset
/* (d1,vc1,d0,vc0)=(1,0,0,0) */
_v_add_co_u32 v65, vcc, v65, 9                     // coord1.1: coord1Vgpr += d1*sg1*VW + vc1

/* Fix for UseInitialStridesCD, emitAddressSetupCode */
s_mul_i32 s52, s[sgprStrideC1J], 9                 // scale stride
_v_add_u32 v66, v66, s52                           // ROWINC- Move cinRowPtr to next row
s_mul_i32 s52, s[sgprStrideD1J], 9                 // scale stride
_v_add_u32 v67, v67, s52                           // Move coutRowPtr to next row
v_cmp_lt_u32 s[52:53], v64, s[sgprSizeI]           // coord0 < size0
v_cmp_lt_u32 s[56:57], v65, s[sgprSizeJ]           // coord1 < size1
s_and_b64 s[56:57], s[52:53], s[56:57]             // in0 && in1
_v_add_lshl_u32 v118, v66, v64, 0x1                // scaleToBpe: accumulate d0 lower and *= bpe into Cin addr
v_cndmask_b32 v118, -1, v118, s[56:57]             // LDC clip if OOB. offset
_buffer_load_d16_b16 v119, v118, s[sgprSrdC:sgprSrdC+3], 0, offen offset:0 // load C for beta calc
_v_add_lshl_u32 v118, v67, v64, 0x1                // scaleToBpe: accumulate d0 lower and *= bpe into Cin addr
v_cndmask_b32 v118, -1, v118, s[56:57]             // LDD clip if OOB. offset
/* (d1,vc1,d0,vc0)=(1,0,0,1) */
_v_add_co_u32 v68, vcc, v64, 1                     // coord0.1: coord0 += d0*sg0*VW + vc0
v_cmp_lt_u32 s[52:53], v68, s[sgprSizeI]           // coord0 < size0
v_cmp_lt_u32 s[56:57], v65, s[sgprSizeJ]           // coord1 < size1
s_and_b64 s[56:57], s[52:53], s[56:57]             // in0 && in1
_v_add_lshl_u32 v121, v66, v68, 0x1                // scaleToBpe: accumulate d0 lower and *= bpe into Cin addr
v_cndmask_b32 v121, -1, v121, s[56:57]             // LDC clip if OOB. offset
_buffer_load_d16_hi_b16 v122, v121, s[sgprSrdC:sgprSrdC+3], 0, offen offset:0 // load C for beta calc
_v_add_lshl_u32 v121, v67, v68, 0x1                // scaleToBpe: accumulate d0 lower and *= bpe into Cin addr
v_cndmask_b32 v121, -1, v121, s[56:57]             // LDD clip if OOB. offset
/* (d1,vc1,d0,vc0)=(1,1,0,0) */
_v_add_co_u32 v65, vcc, v65, 1                     // coord1.1: coord1Vgpr += d1*sg1*VW + vc1

/* Fix for UseInitialStridesCD, emitAddressSetupCode */
_v_add_u32 v66, v66, s[sgprStrideC1J]              // ROWINC- Move cinRowPtr to next row
_v_add_u32 v67, v67, s[sgprStrideD1J]              // Move coutRowPtr to next row
v_cmp_lt_u32 s[52:53], v64, s[sgprSizeI]           // coord0 < size0
v_cmp_lt_u32 s[56:57], v65, s[sgprSizeJ]           // coord1 < size1
s_and_b64 s[56:57], s[52:53], s[56:57]             // in0 && in1
_v_add_lshl_u32 v129, v66, v64, 0x1                // scaleToBpe: accumulate d0 lower and *= bpe into Cin addr
v_cndmask_b32 v129, -1, v129, s[56:57]             // LDC clip if OOB. offset
_buffer_load_d16_b16 v130, v129, s[sgprSrdC:sgprSrdC+3], 0, offen offset:0 // load C for beta calc
_v_add_lshl_u32 v129, v67, v64, 0x1                // scaleToBpe: accumulate d0 lower and *= bpe into Cin addr
v_cndmask_b32 v129, -1, v129, s[56:57]             // LDD clip if OOB. offset
/* (d1,vc1,d0,vc0)=(1,1,0,1) */
_v_add_co_u32 v68, vcc, v64, 1                     // coord0.1: coord0 += d0*sg0*VW + vc0
v_cmp_lt_u32 s[52:53], v68, s[sgprSizeI]           // coord0 < size0
v_cmp_lt_u32 s[56:57], v65, s[sgprSizeJ]           // coord1 < size1
s_and_b64 s[56:57], s[52:53], s[56:57]             // in0 && in1
_v_add_lshl_u32 v132, v66, v68, 0x1                // scaleToBpe: accumulate d0 lower and *= bpe into Cin addr
v_cndmask_b32 v132, -1, v132, s[56:57]             // LDC clip if OOB. offset
_buffer_load_d16_hi_b16 v133, v132, s[sgprSrdC:sgprSrdC+3], 0, offen offset:0 // load C for beta calc
_v_add_lshl_u32 v132, v67, v68, 0x1                // scaleToBpe: accumulate d0 lower and *= bpe into Cin addr
v_cndmask_b32 v132, -1, v132, s[56:57]             // LDD clip if OOB. offset
/* (d1,vc1,d0,vc0)=(1,2,0,0) */
_v_add_co_u32 v65, vcc, v65, 1                     // coord1.1: coord1Vgpr += d1*sg1*VW + vc1

/* Fix for UseInitialStridesCD, emitAddressSetupCode */
_v_add_u32 v66, v66, s[sgprStrideC1J]              // ROWINC- Move cinRowPtr to next row
_v_add_u32 v67, v67, s[sgprStrideD1J]              // Move coutRowPtr to next row
	;; [unrolled: 24-line block ×6, first 2 shown]
v_cmp_lt_u32 s[52:53], v64, s[sgprSizeI]           // coord0 < size0
v_cmp_lt_u32 s[56:57], v65, s[sgprSizeJ]           // coord1 < size1
s_and_b64 s[56:57], s[52:53], s[56:57]             // in0 && in1
_v_add_lshl_u32 v159, v66, v64, 0x1                // scaleToBpe: accumulate d0 lower and *= bpe into Cin addr
v_cndmask_b32 v159, -1, v159, s[56:57]             // LDC clip if OOB. offset
_buffer_load_d16_b16 v160, v159, s[sgprSrdC:sgprSrdC+3], 0, offen offset:0 // load C for beta calc
_v_add_lshl_u32 v159, v67, v64, 0x1                // scaleToBpe: accumulate d0 lower and *= bpe into Cin addr
v_cndmask_b32 v159, -1, v159, s[56:57]             // LDD clip if OOB. offset
/* (d1,vc1,d0,vc0)=(1,6,0,1) */
_v_add_co_u32 v68, vcc, v64, 1                     // coord0.1: coord0 += d0*sg0*VW + vc0
v_cmp_lt_u32 s[52:53], v68, s[sgprSizeI]           // coord0 < size0
v_cmp_lt_u32 s[56:57], v65, s[sgprSizeJ]           // coord1 < size1
s_and_b64 s[56:57], s[52:53], s[56:57]             // in0 && in1
_v_add_lshl_u32 v162, v66, v68, 0x1                // scaleToBpe: accumulate d0 lower and *= bpe into Cin addr
v_cndmask_b32 v162, -1, v162, s[56:57]             // LDC clip if OOB. offset
_buffer_load_d16_hi_b16 v163, v162, s[sgprSrdC:sgprSrdC+3], 0, offen offset:0 // load C for beta calc
_v_add_lshl_u32 v162, v67, v68, 0x1                // scaleToBpe: accumulate d0 lower and *= bpe into Cin addr
v_cndmask_b32 v162, -1, v162, s[56:57]             // LDD clip if OOB. offset

/* rC *= alpha batchElements=[(0, 0, 0, 0), (0, 0, 0, 1), (0, 0, 1, 0), (0, 0, 1, 1), (0, 0, 2, 0), (0, 0, 2, 1), (0, 0, 3, 0), (0, 0, 3, 1), (0, 0, 4, 0), (0, 0, 4, 1), (0, 0, 5, 0), (0, 0, 5, 1), (0, 0, 6, 0), (0, 0, 6, 1), (0, 0, 7, 0), (0, 0, 7, 1), (1, 0, 0, 0), (1, 0, 0, 1), (1, 0, 1, 0), (1, 0, 1, 1), (1, 0, 2, 0), (1, 0, 2, 1), (1, 0, 3, 0), (1, 0, 3, 1), (1, 0, 4, 0), (1, 0, 4, 1), (1, 0, 5, 0), (1, 0, 5, 1), (1, 0, 6, 0), (1, 0, 6, 1)] */
v_mul_f32 v[vgprValuC+72], s[sgprAlpha], v[vgprValuC+0] // Multiply MI out reg with alpha
v_mul_f32 v[vgprValuC+75], s[sgprAlpha], v[vgprValuC+16] // Multiply MI out reg with alpha
	;; [unrolled: 1-line block ×30, first 2 shown]
s_waitcnt vmcnt(0)                                 // wait C

/* apply mask, calc new C and issue writes */
v_fma_mix_f32 v[vgprValuC+72], s[sgprBeta], v71, v[vgprValuC+72], op_sel:[0,0,0] op_sel_hi:[0,1,0] // //C*=beta
v_cvt_f16_f32 v[vgprValuC+72], v[vgprValuC+72]     // convert C to fp16
_buffer_store_b16 v72, v70, s[sgprSrdD:sgprSrdD+3], 0, offen, offset:0 // store D
v_fma_mix_f32 v[vgprValuC+75], s[sgprBeta], v74, v[vgprValuC+75], op_sel:[0,1,0] op_sel_hi:[0,1,0] // //C*=beta
v_cvt_f16_f32 v[vgprValuC+75], v[vgprValuC+75]     // convert C to fp16
_buffer_store_b16 v75, v73, s[sgprSrdD:sgprSrdD+3], 0, offen, offset:0 // store D
	;; [unrolled: 3-line block ×10, first 2 shown]
v_fma_mix_f32 v[vgprValuC+102], s[sgprBeta], v101, v[vgprValuC+102], op_sel:[0,0,0] op_sel_hi:[0,1,0] // //C*=beta
v_cvt_f16_f32 v[vgprValuC+102], v[vgprValuC+102]   // convert C to fp16
_buffer_store_b16 v102, v100, s[sgprSrdD:sgprSrdD+3], 0, offen, offset:0 // store D
v_fma_mix_f32 v[vgprValuC+105], s[sgprBeta], v104, v[vgprValuC+105], op_sel:[0,1,0] op_sel_hi:[0,1,0] // //C*=beta
v_cvt_f16_f32 v[vgprValuC+105], v[vgprValuC+105]   // convert C to fp16
_buffer_store_b16 v105, v103, s[sgprSrdD:sgprSrdD+3], 0, offen, offset:0 // store D
	;; [unrolled: 3-line block ×20, first 2 shown]
s_nop 0                                            // 1 wait state required when next inst writes vgprs held by previous dwordx4 store inst
/* optSingleColVgpr=0 optSharedColVgpr=0 optSGPRUsage=BufferLoad_Edge_Mask optSrdIncForRow=0 */

/******************************************/
/* Global Write Alpha Beta Edge Batch #1 (d1,d0,vc1,vc0) = */
/*    (1,0,7,0:vw1); (1,0,7,1:vw1); (2,0,0,0:vw1); (2,0,0,1:vw1); (2,0,1,0:vw1); (2,0,1,1:vw1); (2,0,2,0:vw1); (2,0,2,1:vw1); (2,0,3,0:vw1); (2,0,3,1:vw1); (2,0,4,0:vw1); (2,0,4,1:vw1); (2,0,5,0:vw1); (2,0,5,1:vw1); (2,0,6,0:vw1); (2,0,6,1:vw1); (2,0,7,0:vw1); (2,0,7,1:vw1); (3,0,0,0:vw1); (3,0,0,1:vw1); (3,0,1,0:vw1); (3,0,1,1:vw1); (3,0,2,0:vw1); (3,0,2,1:vw1); (3,0,3,0:vw1); (3,0,3,1:vw1); (3,0,4,0:vw1); (3,0,4,1:vw1); (3,0,5,0:vw1); (3,0,5,1:vw1) */
/******************************************/

/* calc coords, apply mask, and issue loads (if necessary) */
/* (d1,vc1,d0,vc0)=(1,7,0,0) */
_v_add_co_u32 v65, vcc, v65, 1                     // coord1.1: coord1Vgpr += d1*sg1*VW + vc1

/* Fix for UseInitialStridesCD, emitAddressSetupCode */
_v_add_u32 v66, v66, s[sgprStrideC1J]              // ROWINC- Move cinRowPtr to next row
_v_add_u32 v67, v67, s[sgprStrideD1J]              // Move coutRowPtr to next row
v_cmp_lt_u32 s[52:53], v64, s[sgprSizeI]           // coord0 < size0
v_cmp_lt_u32 s[56:57], v65, s[sgprSizeJ]           // coord1 < size1
s_and_b64 s[56:57], s[52:53], s[56:57]             // in0 && in1
_v_add_lshl_u32 v70, v66, v64, 0x1                 // scaleToBpe: accumulate d0 lower and *= bpe into Cin addr
v_cndmask_b32 v70, -1, v70, s[56:57]               // LDC clip if OOB. offset
_buffer_load_d16_b16 v71, v70, s[sgprSrdC:sgprSrdC+3], 0, offen offset:0 // load C for beta calc
_v_add_lshl_u32 v70, v67, v64, 0x1                 // scaleToBpe: accumulate d0 lower and *= bpe into Cin addr
v_cndmask_b32 v70, -1, v70, s[56:57]               // LDD clip if OOB. offset
/* (d1,vc1,d0,vc0)=(1,7,0,1) */
_v_add_co_u32 v68, vcc, v64, 1                     // coord0.1: coord0 += d0*sg0*VW + vc0
v_cmp_lt_u32 s[52:53], v68, s[sgprSizeI]           // coord0 < size0
v_cmp_lt_u32 s[56:57], v65, s[sgprSizeJ]           // coord1 < size1
s_and_b64 s[56:57], s[52:53], s[56:57]             // in0 && in1
_v_add_lshl_u32 v73, v66, v68, 0x1                 // scaleToBpe: accumulate d0 lower and *= bpe into Cin addr
v_cndmask_b32 v73, -1, v73, s[56:57]               // LDC clip if OOB. offset
_buffer_load_d16_hi_b16 v74, v73, s[sgprSrdC:sgprSrdC+3], 0, offen offset:0 // load C for beta calc
_v_add_lshl_u32 v73, v67, v68, 0x1                 // scaleToBpe: accumulate d0 lower and *= bpe into Cin addr
v_cndmask_b32 v73, -1, v73, s[56:57]               // LDD clip if OOB. offset
/* (d1,vc1,d0,vc0)=(2,0,0,0) */
_v_add_co_u32 v65, vcc, v65, 9                     // coord1.1: coord1Vgpr += d1*sg1*VW + vc1

/* Fix for UseInitialStridesCD, emitAddressSetupCode */
s_mul_i32 s52, s[sgprStrideC1J], 9                 // scale stride
_v_add_u32 v66, v66, s52                           // ROWINC- Move cinRowPtr to next row
s_mul_i32 s52, s[sgprStrideD1J], 9                 // scale stride
_v_add_u32 v67, v67, s52                           // Move coutRowPtr to next row
v_cmp_lt_u32 s[52:53], v64, s[sgprSizeI]           // coord0 < size0
v_cmp_lt_u32 s[56:57], v65, s[sgprSizeJ]           // coord1 < size1
s_and_b64 s[56:57], s[52:53], s[56:57]             // in0 && in1
_v_add_lshl_u32 v76, v66, v64, 0x1                 // scaleToBpe: accumulate d0 lower and *= bpe into Cin addr
v_cndmask_b32 v76, -1, v76, s[56:57]               // LDC clip if OOB. offset
_buffer_load_d16_b16 v77, v76, s[sgprSrdC:sgprSrdC+3], 0, offen offset:0 // load C for beta calc
_v_add_lshl_u32 v76, v67, v64, 0x1                 // scaleToBpe: accumulate d0 lower and *= bpe into Cin addr
v_cndmask_b32 v76, -1, v76, s[56:57]               // LDD clip if OOB. offset
/* (d1,vc1,d0,vc0)=(2,0,0,1) */
_v_add_co_u32 v68, vcc, v64, 1                     // coord0.1: coord0 += d0*sg0*VW + vc0
v_cmp_lt_u32 s[52:53], v68, s[sgprSizeI]           // coord0 < size0
v_cmp_lt_u32 s[56:57], v65, s[sgprSizeJ]           // coord1 < size1
s_and_b64 s[56:57], s[52:53], s[56:57]             // in0 && in1
_v_add_lshl_u32 v79, v66, v68, 0x1                 // scaleToBpe: accumulate d0 lower and *= bpe into Cin addr
v_cndmask_b32 v79, -1, v79, s[56:57]               // LDC clip if OOB. offset
_buffer_load_d16_hi_b16 v80, v79, s[sgprSrdC:sgprSrdC+3], 0, offen offset:0 // load C for beta calc
_v_add_lshl_u32 v79, v67, v68, 0x1                 // scaleToBpe: accumulate d0 lower and *= bpe into Cin addr
v_cndmask_b32 v79, -1, v79, s[56:57]               // LDD clip if OOB. offset
/* (d1,vc1,d0,vc0)=(2,1,0,0) */
_v_add_co_u32 v65, vcc, v65, 1                     // coord1.1: coord1Vgpr += d1*sg1*VW + vc1

/* Fix for UseInitialStridesCD, emitAddressSetupCode */
_v_add_u32 v66, v66, s[sgprStrideC1J]              // ROWINC- Move cinRowPtr to next row
_v_add_u32 v67, v67, s[sgprStrideD1J]              // Move coutRowPtr to next row
v_cmp_lt_u32 s[52:53], v64, s[sgprSizeI]           // coord0 < size0
v_cmp_lt_u32 s[56:57], v65, s[sgprSizeJ]           // coord1 < size1
s_and_b64 s[56:57], s[52:53], s[56:57]             // in0 && in1
_v_add_lshl_u32 v82, v66, v64, 0x1                 // scaleToBpe: accumulate d0 lower and *= bpe into Cin addr
v_cndmask_b32 v82, -1, v82, s[56:57]               // LDC clip if OOB. offset
_buffer_load_d16_b16 v83, v82, s[sgprSrdC:sgprSrdC+3], 0, offen offset:0 // load C for beta calc
_v_add_lshl_u32 v82, v67, v64, 0x1                 // scaleToBpe: accumulate d0 lower and *= bpe into Cin addr
v_cndmask_b32 v82, -1, v82, s[56:57]               // LDD clip if OOB. offset
/* (d1,vc1,d0,vc0)=(2,1,0,1) */
_v_add_co_u32 v68, vcc, v64, 1                     // coord0.1: coord0 += d0*sg0*VW + vc0
v_cmp_lt_u32 s[52:53], v68, s[sgprSizeI]           // coord0 < size0
v_cmp_lt_u32 s[56:57], v65, s[sgprSizeJ]           // coord1 < size1
s_and_b64 s[56:57], s[52:53], s[56:57]             // in0 && in1
_v_add_lshl_u32 v85, v66, v68, 0x1                 // scaleToBpe: accumulate d0 lower and *= bpe into Cin addr
v_cndmask_b32 v85, -1, v85, s[56:57]               // LDC clip if OOB. offset
_buffer_load_d16_hi_b16 v86, v85, s[sgprSrdC:sgprSrdC+3], 0, offen offset:0 // load C for beta calc
_v_add_lshl_u32 v85, v67, v68, 0x1                 // scaleToBpe: accumulate d0 lower and *= bpe into Cin addr
v_cndmask_b32 v85, -1, v85, s[56:57]               // LDD clip if OOB. offset
/* (d1,vc1,d0,vc0)=(2,2,0,0) */
_v_add_co_u32 v65, vcc, v65, 1                     // coord1.1: coord1Vgpr += d1*sg1*VW + vc1

/* Fix for UseInitialStridesCD, emitAddressSetupCode */
_v_add_u32 v66, v66, s[sgprStrideC1J]              // ROWINC- Move cinRowPtr to next row
_v_add_u32 v67, v67, s[sgprStrideD1J]              // Move coutRowPtr to next row
v_cmp_lt_u32 s[52:53], v64, s[sgprSizeI]           // coord0 < size0
v_cmp_lt_u32 s[56:57], v65, s[sgprSizeJ]           // coord1 < size1
s_and_b64 s[56:57], s[52:53], s[56:57]             // in0 && in1
_v_add_lshl_u32 v88, v66, v64, 0x1                 // scaleToBpe: accumulate d0 lower and *= bpe into Cin addr
v_cndmask_b32 v88, -1, v88, s[56:57]               // LDC clip if OOB. offset
_buffer_load_d16_b16 v89, v88, s[sgprSrdC:sgprSrdC+3], 0, offen offset:0 // load C for beta calc
_v_add_lshl_u32 v88, v67, v64, 0x1                 // scaleToBpe: accumulate d0 lower and *= bpe into Cin addr
v_cndmask_b32 v88, -1, v88, s[56:57]               // LDD clip if OOB. offset
/* (d1,vc1,d0,vc0)=(2,2,0,1) */
_v_add_co_u32 v68, vcc, v64, 1                     // coord0.1: coord0 += d0*sg0*VW + vc0
v_cmp_lt_u32 s[52:53], v68, s[sgprSizeI]           // coord0 < size0
v_cmp_lt_u32 s[56:57], v65, s[sgprSizeJ]           // coord1 < size1
s_and_b64 s[56:57], s[52:53], s[56:57]             // in0 && in1
_v_add_lshl_u32 v91, v66, v68, 0x1                 // scaleToBpe: accumulate d0 lower and *= bpe into Cin addr
v_cndmask_b32 v91, -1, v91, s[56:57]               // LDC clip if OOB. offset
_buffer_load_d16_hi_b16 v92, v91, s[sgprSrdC:sgprSrdC+3], 0, offen offset:0 // load C for beta calc
_v_add_lshl_u32 v91, v67, v68, 0x1                 // scaleToBpe: accumulate d0 lower and *= bpe into Cin addr
v_cndmask_b32 v91, -1, v91, s[56:57]               // LDD clip if OOB. offset
/* (d1,vc1,d0,vc0)=(2,3,0,0) */
_v_add_co_u32 v65, vcc, v65, 1                     // coord1.1: coord1Vgpr += d1*sg1*VW + vc1

/* Fix for UseInitialStridesCD, emitAddressSetupCode */
_v_add_u32 v66, v66, s[sgprStrideC1J]              // ROWINC- Move cinRowPtr to next row
_v_add_u32 v67, v67, s[sgprStrideD1J]              // Move coutRowPtr to next row
v_cmp_lt_u32 s[52:53], v64, s[sgprSizeI]           // coord0 < size0
v_cmp_lt_u32 s[56:57], v65, s[sgprSizeJ]           // coord1 < size1
s_and_b64 s[56:57], s[52:53], s[56:57]             // in0 && in1
_v_add_lshl_u32 v94, v66, v64, 0x1                 // scaleToBpe: accumulate d0 lower and *= bpe into Cin addr
v_cndmask_b32 v94, -1, v94, s[56:57]               // LDC clip if OOB. offset
_buffer_load_d16_b16 v95, v94, s[sgprSrdC:sgprSrdC+3], 0, offen offset:0 // load C for beta calc
_v_add_lshl_u32 v94, v67, v64, 0x1                 // scaleToBpe: accumulate d0 lower and *= bpe into Cin addr
v_cndmask_b32 v94, -1, v94, s[56:57]               // LDD clip if OOB. offset
/* (d1,vc1,d0,vc0)=(2,3,0,1) */
_v_add_co_u32 v68, vcc, v64, 1                     // coord0.1: coord0 += d0*sg0*VW + vc0
v_cmp_lt_u32 s[52:53], v68, s[sgprSizeI]           // coord0 < size0
v_cmp_lt_u32 s[56:57], v65, s[sgprSizeJ]           // coord1 < size1
s_and_b64 s[56:57], s[52:53], s[56:57]             // in0 && in1
_v_add_lshl_u32 v97, v66, v68, 0x1                 // scaleToBpe: accumulate d0 lower and *= bpe into Cin addr
v_cndmask_b32 v97, -1, v97, s[56:57]               // LDC clip if OOB. offset
_buffer_load_d16_hi_b16 v98, v97, s[sgprSrdC:sgprSrdC+3], 0, offen offset:0 // load C for beta calc
_v_add_lshl_u32 v97, v67, v68, 0x1                 // scaleToBpe: accumulate d0 lower and *= bpe into Cin addr
v_cndmask_b32 v97, -1, v97, s[56:57]               // LDD clip if OOB. offset
/* (d1,vc1,d0,vc0)=(2,4,0,0) */
_v_add_co_u32 v65, vcc, v65, 1                     // coord1.1: coord1Vgpr += d1*sg1*VW + vc1

/* Fix for UseInitialStridesCD, emitAddressSetupCode */
_v_add_u32 v66, v66, s[sgprStrideC1J]              // ROWINC- Move cinRowPtr to next row
_v_add_u32 v67, v67, s[sgprStrideD1J]              // Move coutRowPtr to next row
v_cmp_lt_u32 s[52:53], v64, s[sgprSizeI]           // coord0 < size0
v_cmp_lt_u32 s[56:57], v65, s[sgprSizeJ]           // coord1 < size1
s_and_b64 s[56:57], s[52:53], s[56:57]             // in0 && in1
_v_add_lshl_u32 v100, v66, v64, 0x1                // scaleToBpe: accumulate d0 lower and *= bpe into Cin addr
v_cndmask_b32 v100, -1, v100, s[56:57]             // LDC clip if OOB. offset
_buffer_load_d16_b16 v101, v100, s[sgprSrdC:sgprSrdC+3], 0, offen offset:0 // load C for beta calc
_v_add_lshl_u32 v100, v67, v64, 0x1                // scaleToBpe: accumulate d0 lower and *= bpe into Cin addr
v_cndmask_b32 v100, -1, v100, s[56:57]             // LDD clip if OOB. offset
/* (d1,vc1,d0,vc0)=(2,4,0,1) */
_v_add_co_u32 v68, vcc, v64, 1                     // coord0.1: coord0 += d0*sg0*VW + vc0
v_cmp_lt_u32 s[52:53], v68, s[sgprSizeI]           // coord0 < size0
v_cmp_lt_u32 s[56:57], v65, s[sgprSizeJ]           // coord1 < size1
s_and_b64 s[56:57], s[52:53], s[56:57]             // in0 && in1
_v_add_lshl_u32 v103, v66, v68, 0x1                // scaleToBpe: accumulate d0 lower and *= bpe into Cin addr
v_cndmask_b32 v103, -1, v103, s[56:57]             // LDC clip if OOB. offset
_buffer_load_d16_hi_b16 v104, v103, s[sgprSrdC:sgprSrdC+3], 0, offen offset:0 // load C for beta calc
_v_add_lshl_u32 v103, v67, v68, 0x1                // scaleToBpe: accumulate d0 lower and *= bpe into Cin addr
v_cndmask_b32 v103, -1, v103, s[56:57]             // LDD clip if OOB. offset
/* (d1,vc1,d0,vc0)=(2,5,0,0) */
_v_add_co_u32 v65, vcc, v65, 1                     // coord1.1: coord1Vgpr += d1*sg1*VW + vc1

/* Fix for UseInitialStridesCD, emitAddressSetupCode */
_v_add_u32 v66, v66, s[sgprStrideC1J]              // ROWINC- Move cinRowPtr to next row
_v_add_u32 v67, v67, s[sgprStrideD1J]              // Move coutRowPtr to next row
v_cmp_lt_u32 s[52:53], v64, s[sgprSizeI]           // coord0 < size0
v_cmp_lt_u32 s[56:57], v65, s[sgprSizeJ]           // coord1 < size1
s_and_b64 s[56:57], s[52:53], s[56:57]             // in0 && in1
_v_add_lshl_u32 v106, v66, v64, 0x1                // scaleToBpe: accumulate d0 lower and *= bpe into Cin addr
v_cndmask_b32 v106, -1, v106, s[56:57]             // LDC clip if OOB. offset
_buffer_load_d16_b16 v107, v106, s[sgprSrdC:sgprSrdC+3], 0, offen offset:0 // load C for beta calc
_v_add_lshl_u32 v106, v67, v64, 0x1                // scaleToBpe: accumulate d0 lower and *= bpe into Cin addr
v_cndmask_b32 v106, -1, v106, s[56:57]             // LDD clip if OOB. offset
/* (d1,vc1,d0,vc0)=(2,5,0,1) */
_v_add_co_u32 v68, vcc, v64, 1                     // coord0.1: coord0 += d0*sg0*VW + vc0
v_cmp_lt_u32 s[52:53], v68, s[sgprSizeI]           // coord0 < size0
v_cmp_lt_u32 s[56:57], v65, s[sgprSizeJ]           // coord1 < size1
s_and_b64 s[56:57], s[52:53], s[56:57]             // in0 && in1
_v_add_lshl_u32 v109, v66, v68, 0x1                // scaleToBpe: accumulate d0 lower and *= bpe into Cin addr
v_cndmask_b32 v109, -1, v109, s[56:57]             // LDC clip if OOB. offset
_buffer_load_d16_hi_b16 v110, v109, s[sgprSrdC:sgprSrdC+3], 0, offen offset:0 // load C for beta calc
_v_add_lshl_u32 v109, v67, v68, 0x1                // scaleToBpe: accumulate d0 lower and *= bpe into Cin addr
v_cndmask_b32 v109, -1, v109, s[56:57]             // LDD clip if OOB. offset
/* (d1,vc1,d0,vc0)=(2,6,0,0) */
_v_add_co_u32 v65, vcc, v65, 1                     // coord1.1: coord1Vgpr += d1*sg1*VW + vc1

/* Fix for UseInitialStridesCD, emitAddressSetupCode */
_v_add_u32 v66, v66, s[sgprStrideC1J]              // ROWINC- Move cinRowPtr to next row
_v_add_u32 v67, v67, s[sgprStrideD1J]              // Move coutRowPtr to next row
v_cmp_lt_u32 s[52:53], v64, s[sgprSizeI]           // coord0 < size0
v_cmp_lt_u32 s[56:57], v65, s[sgprSizeJ]           // coord1 < size1
s_and_b64 s[56:57], s[52:53], s[56:57]             // in0 && in1
_v_add_lshl_u32 v112, v66, v64, 0x1                // scaleToBpe: accumulate d0 lower and *= bpe into Cin addr
v_cndmask_b32 v112, -1, v112, s[56:57]             // LDC clip if OOB. offset
_buffer_load_d16_b16 v113, v112, s[sgprSrdC:sgprSrdC+3], 0, offen offset:0 // load C for beta calc
_v_add_lshl_u32 v112, v67, v64, 0x1                // scaleToBpe: accumulate d0 lower and *= bpe into Cin addr
v_cndmask_b32 v112, -1, v112, s[56:57]             // LDD clip if OOB. offset
/* (d1,vc1,d0,vc0)=(2,6,0,1) */
_v_add_co_u32 v68, vcc, v64, 1                     // coord0.1: coord0 += d0*sg0*VW + vc0
v_cmp_lt_u32 s[52:53], v68, s[sgprSizeI]           // coord0 < size0
v_cmp_lt_u32 s[56:57], v65, s[sgprSizeJ]           // coord1 < size1
s_and_b64 s[56:57], s[52:53], s[56:57]             // in0 && in1
_v_add_lshl_u32 v115, v66, v68, 0x1                // scaleToBpe: accumulate d0 lower and *= bpe into Cin addr
v_cndmask_b32 v115, -1, v115, s[56:57]             // LDC clip if OOB. offset
_buffer_load_d16_hi_b16 v116, v115, s[sgprSrdC:sgprSrdC+3], 0, offen offset:0 // load C for beta calc
_v_add_lshl_u32 v115, v67, v68, 0x1                // scaleToBpe: accumulate d0 lower and *= bpe into Cin addr
v_cndmask_b32 v115, -1, v115, s[56:57]             // LDD clip if OOB. offset
/* (d1,vc1,d0,vc0)=(2,7,0,0) */
_v_add_co_u32 v65, vcc, v65, 1                     // coord1.1: coord1Vgpr += d1*sg1*VW + vc1

/* Fix for UseInitialStridesCD, emitAddressSetupCode */
_v_add_u32 v66, v66, s[sgprStrideC1J]              // ROWINC- Move cinRowPtr to next row
_v_add_u32 v67, v67, s[sgprStrideD1J]              // Move coutRowPtr to next row
v_cmp_lt_u32 s[52:53], v64, s[sgprSizeI]           // coord0 < size0
v_cmp_lt_u32 s[56:57], v65, s[sgprSizeJ]           // coord1 < size1
s_and_b64 s[56:57], s[52:53], s[56:57]             // in0 && in1
_v_add_lshl_u32 v118, v66, v64, 0x1                // scaleToBpe: accumulate d0 lower and *= bpe into Cin addr
v_cndmask_b32 v118, -1, v118, s[56:57]             // LDC clip if OOB. offset
_buffer_load_d16_b16 v119, v118, s[sgprSrdC:sgprSrdC+3], 0, offen offset:0 // load C for beta calc
_v_add_lshl_u32 v118, v67, v64, 0x1                // scaleToBpe: accumulate d0 lower and *= bpe into Cin addr
v_cndmask_b32 v118, -1, v118, s[56:57]             // LDD clip if OOB. offset
/* (d1,vc1,d0,vc0)=(2,7,0,1) */
_v_add_co_u32 v68, vcc, v64, 1                     // coord0.1: coord0 += d0*sg0*VW + vc0
v_cmp_lt_u32 s[52:53], v68, s[sgprSizeI]           // coord0 < size0
v_cmp_lt_u32 s[56:57], v65, s[sgprSizeJ]           // coord1 < size1
s_and_b64 s[56:57], s[52:53], s[56:57]             // in0 && in1
_v_add_lshl_u32 v121, v66, v68, 0x1                // scaleToBpe: accumulate d0 lower and *= bpe into Cin addr
v_cndmask_b32 v121, -1, v121, s[56:57]             // LDC clip if OOB. offset
_buffer_load_d16_hi_b16 v122, v121, s[sgprSrdC:sgprSrdC+3], 0, offen offset:0 // load C for beta calc
_v_add_lshl_u32 v121, v67, v68, 0x1                // scaleToBpe: accumulate d0 lower and *= bpe into Cin addr
v_cndmask_b32 v121, -1, v121, s[56:57]             // LDD clip if OOB. offset
/* (d1,vc1,d0,vc0)=(3,0,0,0) */
_v_add_co_u32 v65, vcc, v65, 9                     // coord1.1: coord1Vgpr += d1*sg1*VW + vc1

/* Fix for UseInitialStridesCD, emitAddressSetupCode */
s_mul_i32 s52, s[sgprStrideC1J], 9                 // scale stride
_v_add_u32 v66, v66, s52                           // ROWINC- Move cinRowPtr to next row
s_mul_i32 s52, s[sgprStrideD1J], 9                 // scale stride
_v_add_u32 v67, v67, s52                           // Move coutRowPtr to next row
v_cmp_lt_u32 s[52:53], v64, s[sgprSizeI]           // coord0 < size0
v_cmp_lt_u32 s[56:57], v65, s[sgprSizeJ]           // coord1 < size1
s_and_b64 s[56:57], s[52:53], s[56:57]             // in0 && in1
_v_add_lshl_u32 v129, v66, v64, 0x1                // scaleToBpe: accumulate d0 lower and *= bpe into Cin addr
v_cndmask_b32 v129, -1, v129, s[56:57]             // LDC clip if OOB. offset
_buffer_load_d16_b16 v130, v129, s[sgprSrdC:sgprSrdC+3], 0, offen offset:0 // load C for beta calc
_v_add_lshl_u32 v129, v67, v64, 0x1                // scaleToBpe: accumulate d0 lower and *= bpe into Cin addr
v_cndmask_b32 v129, -1, v129, s[56:57]             // LDD clip if OOB. offset
/* (d1,vc1,d0,vc0)=(3,0,0,1) */
_v_add_co_u32 v68, vcc, v64, 1                     // coord0.1: coord0 += d0*sg0*VW + vc0
v_cmp_lt_u32 s[52:53], v68, s[sgprSizeI]           // coord0 < size0
v_cmp_lt_u32 s[56:57], v65, s[sgprSizeJ]           // coord1 < size1
s_and_b64 s[56:57], s[52:53], s[56:57]             // in0 && in1
_v_add_lshl_u32 v132, v66, v68, 0x1                // scaleToBpe: accumulate d0 lower and *= bpe into Cin addr
v_cndmask_b32 v132, -1, v132, s[56:57]             // LDC clip if OOB. offset
_buffer_load_d16_hi_b16 v133, v132, s[sgprSrdC:sgprSrdC+3], 0, offen offset:0 // load C for beta calc
_v_add_lshl_u32 v132, v67, v68, 0x1                // scaleToBpe: accumulate d0 lower and *= bpe into Cin addr
v_cndmask_b32 v132, -1, v132, s[56:57]             // LDD clip if OOB. offset
/* (d1,vc1,d0,vc0)=(3,1,0,0) */
_v_add_co_u32 v65, vcc, v65, 1                     // coord1.1: coord1Vgpr += d1*sg1*VW + vc1

/* Fix for UseInitialStridesCD, emitAddressSetupCode */
_v_add_u32 v66, v66, s[sgprStrideC1J]              // ROWINC- Move cinRowPtr to next row
_v_add_u32 v67, v67, s[sgprStrideD1J]              // Move coutRowPtr to next row
v_cmp_lt_u32 s[52:53], v64, s[sgprSizeI]           // coord0 < size0
v_cmp_lt_u32 s[56:57], v65, s[sgprSizeJ]           // coord1 < size1
s_and_b64 s[56:57], s[52:53], s[56:57]             // in0 && in1
_v_add_lshl_u32 v135, v66, v64, 0x1                // scaleToBpe: accumulate d0 lower and *= bpe into Cin addr
v_cndmask_b32 v135, -1, v135, s[56:57]             // LDC clip if OOB. offset
_buffer_load_d16_b16 v136, v135, s[sgprSrdC:sgprSrdC+3], 0, offen offset:0 // load C for beta calc
_v_add_lshl_u32 v135, v67, v64, 0x1                // scaleToBpe: accumulate d0 lower and *= bpe into Cin addr
v_cndmask_b32 v135, -1, v135, s[56:57]             // LDD clip if OOB. offset
/* (d1,vc1,d0,vc0)=(3,1,0,1) */
_v_add_co_u32 v68, vcc, v64, 1                     // coord0.1: coord0 += d0*sg0*VW + vc0
v_cmp_lt_u32 s[52:53], v68, s[sgprSizeI]           // coord0 < size0
v_cmp_lt_u32 s[56:57], v65, s[sgprSizeJ]           // coord1 < size1
s_and_b64 s[56:57], s[52:53], s[56:57]             // in0 && in1
_v_add_lshl_u32 v138, v66, v68, 0x1                // scaleToBpe: accumulate d0 lower and *= bpe into Cin addr
v_cndmask_b32 v138, -1, v138, s[56:57]             // LDC clip if OOB. offset
_buffer_load_d16_hi_b16 v139, v138, s[sgprSrdC:sgprSrdC+3], 0, offen offset:0 // load C for beta calc
_v_add_lshl_u32 v138, v67, v68, 0x1                // scaleToBpe: accumulate d0 lower and *= bpe into Cin addr
v_cndmask_b32 v138, -1, v138, s[56:57]             // LDD clip if OOB. offset
/* (d1,vc1,d0,vc0)=(3,2,0,0) */
_v_add_co_u32 v65, vcc, v65, 1                     // coord1.1: coord1Vgpr += d1*sg1*VW + vc1

/* Fix for UseInitialStridesCD, emitAddressSetupCode */
_v_add_u32 v66, v66, s[sgprStrideC1J]              // ROWINC- Move cinRowPtr to next row
_v_add_u32 v67, v67, s[sgprStrideD1J]              // Move coutRowPtr to next row
v_cmp_lt_u32 s[52:53], v64, s[sgprSizeI]           // coord0 < size0
v_cmp_lt_u32 s[56:57], v65, s[sgprSizeJ]           // coord1 < size1
s_and_b64 s[56:57], s[52:53], s[56:57]             // in0 && in1
_v_add_lshl_u32 v141, v66, v64, 0x1                // scaleToBpe: accumulate d0 lower and *= bpe into Cin addr
v_cndmask_b32 v141, -1, v141, s[56:57]             // LDC clip if OOB. offset
_buffer_load_d16_b16 v142, v141, s[sgprSrdC:sgprSrdC+3], 0, offen offset:0 // load C for beta calc
_v_add_lshl_u32 v141, v67, v64, 0x1                // scaleToBpe: accumulate d0 lower and *= bpe into Cin addr
v_cndmask_b32 v141, -1, v141, s[56:57]             // LDD clip if OOB. offset
/* (d1,vc1,d0,vc0)=(3,2,0,1) */
_v_add_co_u32 v68, vcc, v64, 1                     // coord0.1: coord0 += d0*sg0*VW + vc0
v_cmp_lt_u32 s[52:53], v68, s[sgprSizeI]           // coord0 < size0
v_cmp_lt_u32 s[56:57], v65, s[sgprSizeJ]           // coord1 < size1
s_and_b64 s[56:57], s[52:53], s[56:57]             // in0 && in1
_v_add_lshl_u32 v144, v66, v68, 0x1                // scaleToBpe: accumulate d0 lower and *= bpe into Cin addr
v_cndmask_b32 v144, -1, v144, s[56:57]             // LDC clip if OOB. offset
_buffer_load_d16_hi_b16 v145, v144, s[sgprSrdC:sgprSrdC+3], 0, offen offset:0 // load C for beta calc
_v_add_lshl_u32 v144, v67, v68, 0x1                // scaleToBpe: accumulate d0 lower and *= bpe into Cin addr
v_cndmask_b32 v144, -1, v144, s[56:57]             // LDD clip if OOB. offset
/* (d1,vc1,d0,vc0)=(3,3,0,0) */
_v_add_co_u32 v65, vcc, v65, 1                     // coord1.1: coord1Vgpr += d1*sg1*VW + vc1

/* Fix for UseInitialStridesCD, emitAddressSetupCode */
_v_add_u32 v66, v66, s[sgprStrideC1J]              // ROWINC- Move cinRowPtr to next row
_v_add_u32 v67, v67, s[sgprStrideD1J]              // Move coutRowPtr to next row
v_cmp_lt_u32 s[52:53], v64, s[sgprSizeI]           // coord0 < size0
v_cmp_lt_u32 s[56:57], v65, s[sgprSizeJ]           // coord1 < size1
s_and_b64 s[56:57], s[52:53], s[56:57]             // in0 && in1
_v_add_lshl_u32 v147, v66, v64, 0x1                // scaleToBpe: accumulate d0 lower and *= bpe into Cin addr
v_cndmask_b32 v147, -1, v147, s[56:57]             // LDC clip if OOB. offset
_buffer_load_d16_b16 v148, v147, s[sgprSrdC:sgprSrdC+3], 0, offen offset:0 // load C for beta calc
_v_add_lshl_u32 v147, v67, v64, 0x1                // scaleToBpe: accumulate d0 lower and *= bpe into Cin addr
v_cndmask_b32 v147, -1, v147, s[56:57]             // LDD clip if OOB. offset
/* (d1,vc1,d0,vc0)=(3,3,0,1) */
_v_add_co_u32 v68, vcc, v64, 1                     // coord0.1: coord0 += d0*sg0*VW + vc0
v_cmp_lt_u32 s[52:53], v68, s[sgprSizeI]           // coord0 < size0
v_cmp_lt_u32 s[56:57], v65, s[sgprSizeJ]           // coord1 < size1
s_and_b64 s[56:57], s[52:53], s[56:57]             // in0 && in1
_v_add_lshl_u32 v150, v66, v68, 0x1                // scaleToBpe: accumulate d0 lower and *= bpe into Cin addr
v_cndmask_b32 v150, -1, v150, s[56:57]             // LDC clip if OOB. offset
_buffer_load_d16_hi_b16 v151, v150, s[sgprSrdC:sgprSrdC+3], 0, offen offset:0 // load C for beta calc
_v_add_lshl_u32 v150, v67, v68, 0x1                // scaleToBpe: accumulate d0 lower and *= bpe into Cin addr
v_cndmask_b32 v150, -1, v150, s[56:57]             // LDD clip if OOB. offset
/* (d1,vc1,d0,vc0)=(3,4,0,0) */
_v_add_co_u32 v65, vcc, v65, 1                     // coord1.1: coord1Vgpr += d1*sg1*VW + vc1

/* Fix for UseInitialStridesCD, emitAddressSetupCode */
_v_add_u32 v66, v66, s[sgprStrideC1J]              // ROWINC- Move cinRowPtr to next row
_v_add_u32 v67, v67, s[sgprStrideD1J]              // Move coutRowPtr to next row
v_cmp_lt_u32 s[52:53], v64, s[sgprSizeI]           // coord0 < size0
v_cmp_lt_u32 s[56:57], v65, s[sgprSizeJ]           // coord1 < size1
s_and_b64 s[56:57], s[52:53], s[56:57]             // in0 && in1
_v_add_lshl_u32 v153, v66, v64, 0x1                // scaleToBpe: accumulate d0 lower and *= bpe into Cin addr
v_cndmask_b32 v153, -1, v153, s[56:57]             // LDC clip if OOB. offset
_buffer_load_d16_b16 v154, v153, s[sgprSrdC:sgprSrdC+3], 0, offen offset:0 // load C for beta calc
_v_add_lshl_u32 v153, v67, v64, 0x1                // scaleToBpe: accumulate d0 lower and *= bpe into Cin addr
v_cndmask_b32 v153, -1, v153, s[56:57]             // LDD clip if OOB. offset
/* (d1,vc1,d0,vc0)=(3,4,0,1) */
_v_add_co_u32 v68, vcc, v64, 1                     // coord0.1: coord0 += d0*sg0*VW + vc0
v_cmp_lt_u32 s[52:53], v68, s[sgprSizeI]           // coord0 < size0
v_cmp_lt_u32 s[56:57], v65, s[sgprSizeJ]           // coord1 < size1
s_and_b64 s[56:57], s[52:53], s[56:57]             // in0 && in1
_v_add_lshl_u32 v156, v66, v68, 0x1                // scaleToBpe: accumulate d0 lower and *= bpe into Cin addr
v_cndmask_b32 v156, -1, v156, s[56:57]             // LDC clip if OOB. offset
_buffer_load_d16_hi_b16 v157, v156, s[sgprSrdC:sgprSrdC+3], 0, offen offset:0 // load C for beta calc
_v_add_lshl_u32 v156, v67, v68, 0x1                // scaleToBpe: accumulate d0 lower and *= bpe into Cin addr
v_cndmask_b32 v156, -1, v156, s[56:57]             // LDD clip if OOB. offset
/* (d1,vc1,d0,vc0)=(3,5,0,0) */
_v_add_co_u32 v65, vcc, v65, 1                     // coord1.1: coord1Vgpr += d1*sg1*VW + vc1

/* Fix for UseInitialStridesCD, emitAddressSetupCode */
_v_add_u32 v66, v66, s[sgprStrideC1J]              // ROWINC- Move cinRowPtr to next row
_v_add_u32 v67, v67, s[sgprStrideD1J]              // Move coutRowPtr to next row
v_cmp_lt_u32 s[52:53], v64, s[sgprSizeI]           // coord0 < size0
v_cmp_lt_u32 s[56:57], v65, s[sgprSizeJ]           // coord1 < size1
s_and_b64 s[56:57], s[52:53], s[56:57]             // in0 && in1
_v_add_lshl_u32 v159, v66, v64, 0x1                // scaleToBpe: accumulate d0 lower and *= bpe into Cin addr
v_cndmask_b32 v159, -1, v159, s[56:57]             // LDC clip if OOB. offset
_buffer_load_d16_b16 v160, v159, s[sgprSrdC:sgprSrdC+3], 0, offen offset:0 // load C for beta calc
_v_add_lshl_u32 v159, v67, v64, 0x1                // scaleToBpe: accumulate d0 lower and *= bpe into Cin addr
v_cndmask_b32 v159, -1, v159, s[56:57]             // LDD clip if OOB. offset
/* (d1,vc1,d0,vc0)=(3,5,0,1) */
_v_add_co_u32 v68, vcc, v64, 1                     // coord0.1: coord0 += d0*sg0*VW + vc0
v_cmp_lt_u32 s[52:53], v68, s[sgprSizeI]           // coord0 < size0
v_cmp_lt_u32 s[56:57], v65, s[sgprSizeJ]           // coord1 < size1
s_and_b64 s[56:57], s[52:53], s[56:57]             // in0 && in1
_v_add_lshl_u32 v162, v66, v68, 0x1                // scaleToBpe: accumulate d0 lower and *= bpe into Cin addr
v_cndmask_b32 v162, -1, v162, s[56:57]             // LDC clip if OOB. offset
_buffer_load_d16_hi_b16 v163, v162, s[sgprSrdC:sgprSrdC+3], 0, offen offset:0 // load C for beta calc
_v_add_lshl_u32 v162, v67, v68, 0x1                // scaleToBpe: accumulate d0 lower and *= bpe into Cin addr
v_cndmask_b32 v162, -1, v162, s[56:57]             // LDD clip if OOB. offset

/* rC *= alpha batchElements=[(1, 0, 7, 0), (1, 0, 7, 1), (2, 0, 0, 0), (2, 0, 0, 1), (2, 0, 1, 0), (2, 0, 1, 1), (2, 0, 2, 0), (2, 0, 2, 1), (2, 0, 3, 0), (2, 0, 3, 1), (2, 0, 4, 0), (2, 0, 4, 1), (2, 0, 5, 0), (2, 0, 5, 1), (2, 0, 6, 0), (2, 0, 6, 1), (2, 0, 7, 0), (2, 0, 7, 1), (3, 0, 0, 0), (3, 0, 0, 1), (3, 0, 1, 0), (3, 0, 1, 1), (3, 0, 2, 0), (3, 0, 2, 1), (3, 0, 3, 0), (3, 0, 3, 1), (3, 0, 4, 0), (3, 0, 4, 1), (3, 0, 5, 0), (3, 0, 5, 1)] */
v_mul_f32 v[vgprValuC+72], s[sgprAlpha], v[vgprValuC+39] // Multiply MI out reg with alpha
v_mul_f32 v[vgprValuC+75], s[sgprAlpha], v[vgprValuC+55] // Multiply MI out reg with alpha
v_mul_f32 v[vgprValuC+78], s[sgprAlpha], v[vgprValuC+8] // Multiply MI out reg with alpha
v_mul_f32 v[vgprValuC+81], s[sgprAlpha], v[vgprValuC+24] // Multiply MI out reg with alpha
v_mul_f32 v[vgprValuC+84], s[sgprAlpha], v[vgprValuC+40] // Multiply MI out reg with alpha
v_mul_f32 v[vgprValuC+87], s[sgprAlpha], v[vgprValuC+56] // Multiply MI out reg with alpha
v_mul_f32 v[vgprValuC+90], s[sgprAlpha], v[vgprValuC+9] // Multiply MI out reg with alpha
v_mul_f32 v[vgprValuC+93], s[sgprAlpha], v[vgprValuC+25] // Multiply MI out reg with alpha
v_mul_f32 v[vgprValuC+96], s[sgprAlpha], v[vgprValuC+41] // Multiply MI out reg with alpha
v_mul_f32 v[vgprValuC+99], s[sgprAlpha], v[vgprValuC+57] // Multiply MI out reg with alpha
v_mul_f32 v[vgprValuC+102], s[sgprAlpha], v[vgprValuC+10] // Multiply MI out reg with alpha
v_mul_f32 v[vgprValuC+105], s[sgprAlpha], v[vgprValuC+26] // Multiply MI out reg with alpha
v_mul_f32 v[vgprValuC+108], s[sgprAlpha], v[vgprValuC+42] // Multiply MI out reg with alpha
v_mul_f32 v[vgprValuC+111], s[sgprAlpha], v[vgprValuC+58] // Multiply MI out reg with alpha
v_mul_f32 v[vgprValuC+114], s[sgprAlpha], v[vgprValuC+11] // Multiply MI out reg with alpha
v_mul_f32 v[vgprValuC+117], s[sgprAlpha], v[vgprValuC+27] // Multiply MI out reg with alpha
v_mul_f32 v[vgprValuC+120], s[sgprAlpha], v[vgprValuC+43] // Multiply MI out reg with alpha
v_mul_f32 v[vgprValuC+123], s[sgprAlpha], v[vgprValuC+59] // Multiply MI out reg with alpha
v_mul_f32 v[vgprValuC+131], s[sgprAlpha], v[vgprValuC+12] // Multiply MI out reg with alpha
v_mul_f32 v[vgprValuC+134], s[sgprAlpha], v[vgprValuC+28] // Multiply MI out reg with alpha
v_mul_f32 v[vgprValuC+137], s[sgprAlpha], v[vgprValuC+44] // Multiply MI out reg with alpha
v_mul_f32 v[vgprValuC+140], s[sgprAlpha], v[vgprValuC+60] // Multiply MI out reg with alpha
v_mul_f32 v[vgprValuC+143], s[sgprAlpha], v[vgprValuC+13] // Multiply MI out reg with alpha
v_mul_f32 v[vgprValuC+146], s[sgprAlpha], v[vgprValuC+29] // Multiply MI out reg with alpha
v_mul_f32 v[vgprValuC+149], s[sgprAlpha], v[vgprValuC+45] // Multiply MI out reg with alpha
v_mul_f32 v[vgprValuC+152], s[sgprAlpha], v[vgprValuC+61] // Multiply MI out reg with alpha
v_mul_f32 v[vgprValuC+155], s[sgprAlpha], v[vgprValuC+14] // Multiply MI out reg with alpha
v_mul_f32 v[vgprValuC+158], s[sgprAlpha], v[vgprValuC+30] // Multiply MI out reg with alpha
v_mul_f32 v[vgprValuC+161], s[sgprAlpha], v[vgprValuC+46] // Multiply MI out reg with alpha
v_mul_f32 v[vgprValuC+164], s[sgprAlpha], v[vgprValuC+62] // Multiply MI out reg with alpha
s_waitcnt vmcnt(0)                                 // wait C

/* apply mask, calc new C and issue writes */
v_fma_mix_f32 v[vgprValuC+72], s[sgprBeta], v71, v[vgprValuC+72], op_sel:[0,0,0] op_sel_hi:[0,1,0] // //C*=beta
v_cvt_f16_f32 v[vgprValuC+72], v[vgprValuC+72]     // convert C to fp16
_buffer_store_b16 v72, v70, s[sgprSrdD:sgprSrdD+3], 0, offen, offset:0 // store D
v_fma_mix_f32 v[vgprValuC+75], s[sgprBeta], v74, v[vgprValuC+75], op_sel:[0,1,0] op_sel_hi:[0,1,0] // //C*=beta
v_cvt_f16_f32 v[vgprValuC+75], v[vgprValuC+75]     // convert C to fp16
_buffer_store_b16 v75, v73, s[sgprSrdD:sgprSrdD+3], 0, offen, offset:0 // store D
v_fma_mix_f32 v[vgprValuC+78], s[sgprBeta], v77, v[vgprValuC+78], op_sel:[0,0,0] op_sel_hi:[0,1,0] // //C*=beta
v_cvt_f16_f32 v[vgprValuC+78], v[vgprValuC+78]     // convert C to fp16
_buffer_store_b16 v78, v76, s[sgprSrdD:sgprSrdD+3], 0, offen, offset:0 // store D
v_fma_mix_f32 v[vgprValuC+81], s[sgprBeta], v80, v[vgprValuC+81], op_sel:[0,1,0] op_sel_hi:[0,1,0] // //C*=beta
v_cvt_f16_f32 v[vgprValuC+81], v[vgprValuC+81]     // convert C to fp16
_buffer_store_b16 v81, v79, s[sgprSrdD:sgprSrdD+3], 0, offen, offset:0 // store D
v_fma_mix_f32 v[vgprValuC+84], s[sgprBeta], v83, v[vgprValuC+84], op_sel:[0,0,0] op_sel_hi:[0,1,0] // //C*=beta
v_cvt_f16_f32 v[vgprValuC+84], v[vgprValuC+84]     // convert C to fp16
_buffer_store_b16 v84, v82, s[sgprSrdD:sgprSrdD+3], 0, offen, offset:0 // store D
v_fma_mix_f32 v[vgprValuC+87], s[sgprBeta], v86, v[vgprValuC+87], op_sel:[0,1,0] op_sel_hi:[0,1,0] // //C*=beta
v_cvt_f16_f32 v[vgprValuC+87], v[vgprValuC+87]     // convert C to fp16
_buffer_store_b16 v87, v85, s[sgprSrdD:sgprSrdD+3], 0, offen, offset:0 // store D
v_fma_mix_f32 v[vgprValuC+90], s[sgprBeta], v89, v[vgprValuC+90], op_sel:[0,0,0] op_sel_hi:[0,1,0] // //C*=beta
v_cvt_f16_f32 v[vgprValuC+90], v[vgprValuC+90]     // convert C to fp16
_buffer_store_b16 v90, v88, s[sgprSrdD:sgprSrdD+3], 0, offen, offset:0 // store D
v_fma_mix_f32 v[vgprValuC+93], s[sgprBeta], v92, v[vgprValuC+93], op_sel:[0,1,0] op_sel_hi:[0,1,0] // //C*=beta
v_cvt_f16_f32 v[vgprValuC+93], v[vgprValuC+93]     // convert C to fp16
_buffer_store_b16 v93, v91, s[sgprSrdD:sgprSrdD+3], 0, offen, offset:0 // store D
v_fma_mix_f32 v[vgprValuC+96], s[sgprBeta], v95, v[vgprValuC+96], op_sel:[0,0,0] op_sel_hi:[0,1,0] // //C*=beta
v_cvt_f16_f32 v[vgprValuC+96], v[vgprValuC+96]     // convert C to fp16
_buffer_store_b16 v96, v94, s[sgprSrdD:sgprSrdD+3], 0, offen, offset:0 // store D
v_fma_mix_f32 v[vgprValuC+99], s[sgprBeta], v98, v[vgprValuC+99], op_sel:[0,1,0] op_sel_hi:[0,1,0] // //C*=beta
v_cvt_f16_f32 v[vgprValuC+99], v[vgprValuC+99]     // convert C to fp16
_buffer_store_b16 v99, v97, s[sgprSrdD:sgprSrdD+3], 0, offen, offset:0 // store D
v_fma_mix_f32 v[vgprValuC+102], s[sgprBeta], v101, v[vgprValuC+102], op_sel:[0,0,0] op_sel_hi:[0,1,0] // //C*=beta
v_cvt_f16_f32 v[vgprValuC+102], v[vgprValuC+102]   // convert C to fp16
_buffer_store_b16 v102, v100, s[sgprSrdD:sgprSrdD+3], 0, offen, offset:0 // store D
v_fma_mix_f32 v[vgprValuC+105], s[sgprBeta], v104, v[vgprValuC+105], op_sel:[0,1,0] op_sel_hi:[0,1,0] // //C*=beta
v_cvt_f16_f32 v[vgprValuC+105], v[vgprValuC+105]   // convert C to fp16
_buffer_store_b16 v105, v103, s[sgprSrdD:sgprSrdD+3], 0, offen, offset:0 // store D
	;; [unrolled: 3-line block ×20, first 2 shown]
s_nop 0                                            // 1 wait state required when next inst writes vgprs held by previous dwordx4 store inst
/* optSingleColVgpr=0 optSharedColVgpr=0 optSGPRUsage=BufferLoad_Edge_Mask optSrdIncForRow=0 */

/******************************************/
/* Global Write Alpha Beta Edge Batch #2 (d1,d0,vc1,vc0) = */
/*    (3,0,6,0:vw1); (3,0,6,1:vw1); (3,0,7,0:vw1); (3,0,7,1:vw1) */
/******************************************/

/* calc coords, apply mask, and issue loads (if necessary) */
/* (d1,vc1,d0,vc0)=(3,6,0,0) */
_v_add_co_u32 v65, vcc, v65, 1                     // coord1.1: coord1Vgpr += d1*sg1*VW + vc1

/* Fix for UseInitialStridesCD, emitAddressSetupCode */
_v_add_u32 v66, v66, s[sgprStrideC1J]              // ROWINC- Move cinRowPtr to next row
_v_add_u32 v67, v67, s[sgprStrideD1J]              // Move coutRowPtr to next row
v_cmp_lt_u32 s[52:53], v64, s[sgprSizeI]           // coord0 < size0
v_cmp_lt_u32 s[56:57], v65, s[sgprSizeJ]           // coord1 < size1
s_and_b64 s[56:57], s[52:53], s[56:57]             // in0 && in1
_v_add_lshl_u32 v70, v66, v64, 0x1                 // scaleToBpe: accumulate d0 lower and *= bpe into Cin addr
v_cndmask_b32 v70, -1, v70, s[56:57]               // LDC clip if OOB. offset
_buffer_load_d16_b16 v71, v70, s[sgprSrdC:sgprSrdC+3], 0, offen offset:0 // load C for beta calc
_v_add_lshl_u32 v70, v67, v64, 0x1                 // scaleToBpe: accumulate d0 lower and *= bpe into Cin addr
v_cndmask_b32 v70, -1, v70, s[56:57]               // LDD clip if OOB. offset
/* (d1,vc1,d0,vc0)=(3,6,0,1) */
_v_add_co_u32 v68, vcc, v64, 1                     // coord0.1: coord0 += d0*sg0*VW + vc0
v_cmp_lt_u32 s[52:53], v68, s[sgprSizeI]           // coord0 < size0
v_cmp_lt_u32 s[56:57], v65, s[sgprSizeJ]           // coord1 < size1
s_and_b64 s[56:57], s[52:53], s[56:57]             // in0 && in1
_v_add_lshl_u32 v73, v66, v68, 0x1                 // scaleToBpe: accumulate d0 lower and *= bpe into Cin addr
v_cndmask_b32 v73, -1, v73, s[56:57]               // LDC clip if OOB. offset
_buffer_load_d16_hi_b16 v74, v73, s[sgprSrdC:sgprSrdC+3], 0, offen offset:0 // load C for beta calc
_v_add_lshl_u32 v73, v67, v68, 0x1                 // scaleToBpe: accumulate d0 lower and *= bpe into Cin addr
v_cndmask_b32 v73, -1, v73, s[56:57]               // LDD clip if OOB. offset
/* (d1,vc1,d0,vc0)=(3,7,0,0) */
_v_add_co_u32 v65, vcc, v65, 1                     // coord1.1: coord1Vgpr += d1*sg1*VW + vc1

/* Fix for UseInitialStridesCD, emitAddressSetupCode */
_v_add_u32 v66, v66, s[sgprStrideC1J]              // ROWINC- Move cinRowPtr to next row
_v_add_u32 v67, v67, s[sgprStrideD1J]              // Move coutRowPtr to next row
v_cmp_lt_u32 s[52:53], v64, s[sgprSizeI]           // coord0 < size0
v_cmp_lt_u32 s[56:57], v65, s[sgprSizeJ]           // coord1 < size1
s_and_b64 s[56:57], s[52:53], s[56:57]             // in0 && in1
_v_add_lshl_u32 v76, v66, v64, 0x1                 // scaleToBpe: accumulate d0 lower and *= bpe into Cin addr
v_cndmask_b32 v76, -1, v76, s[56:57]               // LDC clip if OOB. offset
_buffer_load_d16_b16 v77, v76, s[sgprSrdC:sgprSrdC+3], 0, offen offset:0 // load C for beta calc
_v_add_lshl_u32 v76, v67, v64, 0x1                 // scaleToBpe: accumulate d0 lower and *= bpe into Cin addr
v_cndmask_b32 v76, -1, v76, s[56:57]               // LDD clip if OOB. offset
/* (d1,vc1,d0,vc0)=(3,7,0,1) */
_v_add_co_u32 v68, vcc, v64, 1                     // coord0.1: coord0 += d0*sg0*VW + vc0
v_cmp_lt_u32 s[52:53], v68, s[sgprSizeI]           // coord0 < size0
v_cmp_lt_u32 s[56:57], v65, s[sgprSizeJ]           // coord1 < size1
s_and_b64 s[56:57], s[52:53], s[56:57]             // in0 && in1
_v_add_lshl_u32 v79, v66, v68, 0x1                 // scaleToBpe: accumulate d0 lower and *= bpe into Cin addr
v_cndmask_b32 v79, -1, v79, s[56:57]               // LDC clip if OOB. offset
_buffer_load_d16_hi_b16 v80, v79, s[sgprSrdC:sgprSrdC+3], 0, offen offset:0 // load C for beta calc
_v_add_lshl_u32 v79, v67, v68, 0x1                 // scaleToBpe: accumulate d0 lower and *= bpe into Cin addr
v_cndmask_b32 v79, -1, v79, s[56:57]               // LDD clip if OOB. offset

/* rC *= alpha batchElements=[(3, 0, 6, 0), (3, 0, 6, 1), (3, 0, 7, 0), (3, 0, 7, 1)] */
v_mul_f32 v[vgprValuC+72], s[sgprAlpha], v[vgprValuC+15] // Multiply MI out reg with alpha
v_mul_f32 v[vgprValuC+75], s[sgprAlpha], v[vgprValuC+31] // Multiply MI out reg with alpha
	;; [unrolled: 1-line block ×4, first 2 shown]
s_waitcnt vmcnt(0)                                 // wait C

/* apply mask, calc new C and issue writes */
v_fma_mix_f32 v[vgprValuC+72], s[sgprBeta], v71, v[vgprValuC+72], op_sel:[0,0,0] op_sel_hi:[0,1,0] // //C*=beta
v_cvt_f16_f32 v[vgprValuC+72], v[vgprValuC+72]     // convert C to fp16
_buffer_store_b16 v72, v70, s[sgprSrdD:sgprSrdD+3], 0, offen, offset:0 // store D
v_fma_mix_f32 v[vgprValuC+75], s[sgprBeta], v74, v[vgprValuC+75], op_sel:[0,1,0] op_sel_hi:[0,1,0] // //C*=beta
v_cvt_f16_f32 v[vgprValuC+75], v[vgprValuC+75]     // convert C to fp16
_buffer_store_b16 v75, v73, s[sgprSrdD:sgprSrdD+3], 0, offen, offset:0 // store D
	;; [unrolled: 3-line block ×4, first 2 shown]
s_nop 0                                            // 1 wait state required when next inst writes vgprs held by previous dwordx4 store inst
s_branch label_GW_End_67                           // jump to end
label_GW_End_67:

label_0072:  /// KernelEnd
s_endpgm                                           // Kernel End

